;; amdgpu-corpus repo=ROCm/rocSPARSE kind=compiled arch=gfx906 opt=O3
	.amdgcn_target "amdgcn-amd-amdhsa--gfx906"
	.amdhsa_code_object_version 6
	.section	.text._ZN9rocsparseL37csrgeam_fill_numeric_multipass_kernelILj256ELj32EiifEEvllNS_24const_host_device_scalarIT3_EEPKT1_PKT2_PKS2_S3_S6_S9_SB_S6_PS2_21rocsparse_index_base_SD_SD_bbb,"axG",@progbits,_ZN9rocsparseL37csrgeam_fill_numeric_multipass_kernelILj256ELj32EiifEEvllNS_24const_host_device_scalarIT3_EEPKT1_PKT2_PKS2_S3_S6_S9_SB_S6_PS2_21rocsparse_index_base_SD_SD_bbb,comdat
	.globl	_ZN9rocsparseL37csrgeam_fill_numeric_multipass_kernelILj256ELj32EiifEEvllNS_24const_host_device_scalarIT3_EEPKT1_PKT2_PKS2_S3_S6_S9_SB_S6_PS2_21rocsparse_index_base_SD_SD_bbb ; -- Begin function _ZN9rocsparseL37csrgeam_fill_numeric_multipass_kernelILj256ELj32EiifEEvllNS_24const_host_device_scalarIT3_EEPKT1_PKT2_PKS2_S3_S6_S9_SB_S6_PS2_21rocsparse_index_base_SD_SD_bbb
	.p2align	8
	.type	_ZN9rocsparseL37csrgeam_fill_numeric_multipass_kernelILj256ELj32EiifEEvllNS_24const_host_device_scalarIT3_EEPKT1_PKT2_PKS2_S3_S6_S9_SB_S6_PS2_21rocsparse_index_base_SD_SD_bbb,@function
_ZN9rocsparseL37csrgeam_fill_numeric_multipass_kernelILj256ELj32EiifEEvllNS_24const_host_device_scalarIT3_EEPKT1_PKT2_PKS2_S3_S6_S9_SB_S6_PS2_21rocsparse_index_base_SD_SD_bbb: ; @_ZN9rocsparseL37csrgeam_fill_numeric_multipass_kernelILj256ELj32EiifEEvllNS_24const_host_device_scalarIT3_EEPKT1_PKT2_PKS2_S3_S6_S9_SB_S6_PS2_21rocsparse_index_base_SD_SD_bbb
; %bb.0:
	s_load_dwordx4 s[8:11], s[4:5], 0x60
	s_load_dwordx2 s[2:3], s[4:5], 0x30
	s_load_dword s7, s[4:5], 0x6c
	s_load_dwordx4 s[12:15], s[4:5], 0x0
	s_load_dwordx2 s[18:19], s[4:5], 0x10
	s_waitcnt lgkmcnt(0)
	s_bitcmp1_b32 s11, 0
	s_cselect_b64 s[0:1], -1, 0
	s_bitcmp1_b32 s7, 16
	s_cselect_b64 s[16:17], -1, 0
	s_xor_b64 s[20:21], s[0:1], -1
	s_or_b64 s[20:21], s[16:17], s[20:21]
	s_and_b64 vcc, exec, s[20:21]
	s_cbranch_vccnz .LBB0_2
; %bb.1:
	s_load_dword s0, s[18:19], 0x0
	s_waitcnt lgkmcnt(0)
	v_mov_b32_e32 v9, s0
	s_branch .LBB0_3
.LBB0_2:
	v_mov_b32_e32 v1, s18
	v_cndmask_b32_e64 v9, 0, v1, s[0:1]
.LBB0_3:
	s_bitcmp1_b32 s7, 8
	s_cselect_b64 s[0:1], -1, 0
	s_xor_b64 s[18:19], s[0:1], -1
	s_or_b64 s[16:17], s[16:17], s[18:19]
	s_and_b64 vcc, exec, s[16:17]
	s_cbranch_vccnz .LBB0_5
; %bb.4:
	s_load_dword s0, s[2:3], 0x0
	s_waitcnt lgkmcnt(0)
	v_mov_b32_e32 v10, s0
	s_branch .LBB0_6
.LBB0_5:
	v_mov_b32_e32 v1, s2
	v_cndmask_b32_e64 v10, 0, v1, s[0:1]
.LBB0_6:
	s_lshl_b32 s0, s6, 3
	v_lshrrev_b32_e32 v1, 5, v0
	s_and_b32 s0, s0, 0x7fffff8
	v_or_b32_e32 v1, s0, v1
	v_mov_b32_e32 v2, 0
	v_cmp_gt_i64_e32 vcc, s[12:13], v[1:2]
	s_and_saveexec_b64 s[0:1], vcc
	s_cbranch_execz .LBB0_37
; %bb.7:
	s_load_dwordx4 s[0:3], s[4:5], 0x18
	s_load_dwordx2 s[6:7], s[4:5], 0x38
	s_load_dwordx2 s[12:13], s[4:5], 0x50
	v_lshlrev_b32_e32 v6, 2, v1
	s_waitcnt lgkmcnt(0)
	global_load_dwordx2 v[3:4], v6, s[0:1]
	global_load_dwordx2 v[1:2], v6, s[6:7]
	global_load_dword v5, v6, s[12:13]
	s_waitcnt vmcnt(2)
	v_cmp_ge_i32_e32 vcc, v3, v4
	s_and_saveexec_b64 s[0:1], vcc
	s_xor_b64 s[0:1], exec, s[0:1]
	s_or_saveexec_b64 s[0:1], s[0:1]
	v_subrev_u32_e32 v6, s8, v3
	v_mov_b32_e32 v3, s14
	s_xor_b64 exec, exec, s[0:1]
	s_cbranch_execz .LBB0_9
; %bb.8:
	v_ashrrev_i32_e32 v7, 31, v6
	v_lshlrev_b64 v[7:8], 2, v[6:7]
	v_mov_b32_e32 v3, s3
	v_add_co_u32_e32 v7, vcc, s2, v7
	v_addc_co_u32_e32 v8, vcc, v3, v8, vcc
	global_load_dword v3, v[7:8], off
	s_waitcnt vmcnt(0)
	v_subrev_u32_e32 v3, s8, v3
.LBB0_9:
	s_or_b64 exec, exec, s[0:1]
	s_load_dwordx2 s[6:7], s[4:5], 0x40
	s_waitcnt vmcnt(1)
	v_cmp_ge_i32_e32 vcc, v1, v2
	v_mov_b32_e32 v11, s14
	s_and_saveexec_b64 s[0:1], vcc
	s_xor_b64 s[0:1], exec, s[0:1]
; %bb.10:
	v_mov_b32_e32 v11, s14
; %bb.11:
	s_or_saveexec_b64 s[0:1], s[0:1]
	s_load_dwordx2 s[12:13], s[4:5], 0x58
	s_load_dwordx2 s[16:17], s[4:5], 0x48
	;; [unrolled: 1-line block ×3, first 2 shown]
	v_subrev_u32_e32 v7, s9, v1
	v_mov_b32_e32 v1, v11
	s_xor_b64 exec, exec, s[0:1]
	s_cbranch_execz .LBB0_13
; %bb.12:
	v_ashrrev_i32_e32 v8, 31, v7
	v_lshlrev_b64 v[12:13], 2, v[7:8]
	s_waitcnt lgkmcnt(0)
	v_mov_b32_e32 v1, s7
	v_add_co_u32_e32 v12, vcc, s6, v12
	v_addc_co_u32_e32 v13, vcc, v1, v13, vcc
	global_load_dword v1, v[12:13], off
	s_waitcnt vmcnt(0)
	v_subrev_u32_e32 v1, s9, v1
.LBB0_13:
	s_or_b64 exec, exec, s[0:1]
	s_waitcnt vmcnt(0)
	v_subrev_u32_e32 v15, s10, v5
	v_min_i32_e32 v5, v1, v3
	v_mbcnt_lo_u32_b32 v1, -1, 0
	v_mbcnt_hi_u32_b32 v1, -1, v1
	v_and_b32_e32 v3, 64, v1
	v_subrev_u32_e32 v13, s8, v4
	v_and_b32_e32 v16, 31, v0
	v_add_u32_e32 v3, 64, v3
	v_xor_b32_e32 v4, 16, v1
	v_and_b32_e32 v12, 0xe0, v0
	v_add_u32_e32 v0, v6, v16
	v_xor_b32_e32 v6, 8, v1
	v_cmp_lt_i32_e32 vcc, v4, v3
	v_subrev_u32_e32 v14, s9, v2
	v_add_u32_e32 v2, v7, v16
	v_xor_b32_e32 v7, 4, v1
	v_cndmask_b32_e32 v4, v1, v4, vcc
	v_cmp_lt_i32_e32 vcc, v6, v3
	v_xor_b32_e32 v22, 2, v1
	v_lshlrev_b32_e32 v19, 2, v4
	v_cndmask_b32_e32 v4, v1, v6, vcc
	v_cmp_lt_i32_e32 vcc, v7, v3
	v_xor_b32_e32 v23, 1, v1
	v_lshlrev_b32_e32 v20, 2, v4
	v_cndmask_b32_e32 v4, v1, v7, vcc
	v_cmp_lt_i32_e32 vcc, v22, v3
	v_lshlrev_b32_e32 v21, 2, v4
	v_cndmask_b32_e32 v4, v1, v22, vcc
	v_cmp_lt_i32_e32 vcc, v23, v3
	v_or_b32_e32 v8, 0x400, v12
	v_lshlrev_b32_e32 v12, 2, v12
	v_xor_b32_e32 v18, 31, v16
	v_cndmask_b32_e32 v1, v1, v23, vcc
	v_lshl_or_b32 v17, v16, 2, v12
	v_lshrrev_b32_e64 v18, v18, -1
	v_lshlrev_b32_e32 v22, 2, v4
	v_lshlrev_b32_e32 v23, 2, v1
	s_mov_b64 s[4:5], 0
	v_mov_b32_e32 v24, 1
	v_mov_b32_e32 v4, 0
	s_branch .LBB0_15
.LBB0_14:                               ;   in Loop: Header=BB0_15 Depth=1
	s_or_b64 exec, exec, s[10:11]
	ds_bpermute_b32 v1, v19, v25
	s_bcnt1_i32_b64 s10, vcc
	v_add_u32_e32 v15, s10, v15
	s_waitcnt lgkmcnt(0)
	v_min_i32_e32 v1, v1, v25
	ds_bpermute_b32 v3, v20, v1
	s_waitcnt lgkmcnt(0)
	v_min_i32_e32 v1, v3, v1
	ds_bpermute_b32 v3, v21, v1
	;; [unrolled: 3-line block ×4, first 2 shown]
	s_waitcnt lgkmcnt(0)
	v_min_i32_e32 v5, v3, v1
	v_ashrrev_i32_e32 v6, 31, v5
	v_cmp_le_i64_e64 s[0:1], s[14:15], v[5:6]
	s_or_b64 s[4:5], s[0:1], s[4:5]
	s_andn2_b64 exec, exec, s[4:5]
	s_cbranch_execz .LBB0_37
.LBB0_15:                               ; =>This Loop Header: Depth=1
                                        ;     Child Loop BB0_18 Depth 2
                                        ;     Child Loop BB0_28 Depth 2
	v_add_u32_e32 v26, v8, v16
	v_cmp_lt_i32_e32 vcc, v0, v13
	v_mov_b32_e32 v25, v11
	ds_write_b8 v26, v4
	ds_write_b32 v17, v4
	s_waitcnt lgkmcnt(0)
	s_and_saveexec_b64 s[10:11], vcc
	s_cbranch_execz .LBB0_25
; %bb.16:                               ;   in Loop: Header=BB0_15 Depth=1
	s_mov_b64 s[20:21], 0
	v_mov_b32_e32 v25, v11
	s_branch .LBB0_18
.LBB0_17:                               ;   in Loop: Header=BB0_18 Depth=2
	s_or_b64 exec, exec, s[22:23]
	s_and_b64 s[0:1], exec, s[0:1]
	s_or_b64 s[20:21], s[0:1], s[20:21]
	s_andn2_b64 exec, exec, s[20:21]
	s_cbranch_execz .LBB0_24
.LBB0_18:                               ;   Parent Loop BB0_15 Depth=1
                                        ; =>  This Inner Loop Header: Depth=2
	v_ashrrev_i32_e32 v1, 31, v0
	v_lshlrev_b64 v[6:7], 2, v[0:1]
	v_mov_b32_e32 v1, s3
	v_add_co_u32_e32 v27, vcc, s2, v6
	v_addc_co_u32_e32 v28, vcc, v1, v7, vcc
	global_load_dword v1, v[27:28], off
	s_waitcnt vmcnt(0)
	v_subrev_u32_e32 v3, s8, v1
	v_sub_u32_e32 v1, v3, v5
	v_cmp_gt_u32_e32 vcc, 32, v1
	v_cmp_lt_u32_e64 s[0:1], 31, v1
	s_and_saveexec_b64 s[22:23], s[0:1]
	s_xor_b64 s[0:1], exec, s[22:23]
	s_cbranch_execnz .LBB0_21
; %bb.19:                               ;   in Loop: Header=BB0_18 Depth=2
	s_andn2_saveexec_b64 s[22:23], s[0:1]
	s_cbranch_execnz .LBB0_22
.LBB0_20:                               ;   in Loop: Header=BB0_18 Depth=2
	s_or_b64 exec, exec, s[22:23]
	s_mov_b64 s[0:1], -1
	s_and_saveexec_b64 s[22:23], vcc
	s_cbranch_execz .LBB0_17
	s_branch .LBB0_23
.LBB0_21:                               ;   in Loop: Header=BB0_18 Depth=2
	v_min_i32_e32 v25, v3, v25
                                        ; implicit-def: $vgpr1
                                        ; implicit-def: $vgpr6_vgpr7
	s_andn2_saveexec_b64 s[22:23], s[0:1]
	s_cbranch_execz .LBB0_20
.LBB0_22:                               ;   in Loop: Header=BB0_18 Depth=2
	v_mov_b32_e32 v3, s19
	v_add_co_u32_e64 v6, s[0:1], s18, v6
	v_addc_co_u32_e64 v7, s[0:1], v3, v7, s[0:1]
	global_load_dword v3, v[6:7], off
	v_add_u32_e32 v6, v8, v1
	v_lshl_add_u32 v1, v1, 2, v12
	ds_write_b8 v6, v24
	s_waitcnt vmcnt(0)
	v_mul_f32_e32 v3, v9, v3
	ds_write_b32 v1, v3
	s_or_b64 exec, exec, s[22:23]
	s_mov_b64 s[0:1], -1
	s_and_saveexec_b64 s[22:23], vcc
	s_cbranch_execz .LBB0_17
.LBB0_23:                               ;   in Loop: Header=BB0_18 Depth=2
	v_add_u32_e32 v0, 32, v0
	v_cmp_ge_i32_e32 vcc, v0, v13
	s_orn2_b64 s[0:1], vcc, exec
	s_branch .LBB0_17
.LBB0_24:                               ;   in Loop: Header=BB0_15 Depth=1
	s_or_b64 exec, exec, s[20:21]
.LBB0_25:                               ;   in Loop: Header=BB0_15 Depth=1
	s_or_b64 exec, exec, s[10:11]
	v_cmp_lt_i32_e32 vcc, v2, v14
	s_waitcnt lgkmcnt(0)
	s_and_saveexec_b64 s[10:11], vcc
	s_cbranch_execz .LBB0_35
; %bb.26:                               ;   in Loop: Header=BB0_15 Depth=1
	s_mov_b64 s[20:21], 0
	s_branch .LBB0_28
.LBB0_27:                               ;   in Loop: Header=BB0_28 Depth=2
	s_or_b64 exec, exec, s[22:23]
	s_and_b64 s[0:1], exec, s[0:1]
	s_or_b64 s[20:21], s[0:1], s[20:21]
	s_andn2_b64 exec, exec, s[20:21]
	s_cbranch_execz .LBB0_34
.LBB0_28:                               ;   Parent Loop BB0_15 Depth=1
                                        ; =>  This Inner Loop Header: Depth=2
	v_ashrrev_i32_e32 v3, 31, v2
	v_lshlrev_b64 v[6:7], 2, v[2:3]
	v_mov_b32_e32 v1, s7
	v_add_co_u32_e32 v27, vcc, s6, v6
	v_addc_co_u32_e32 v28, vcc, v1, v7, vcc
	global_load_dword v1, v[27:28], off
	s_waitcnt vmcnt(0)
	v_subrev_u32_e32 v3, s9, v1
	v_sub_u32_e32 v1, v3, v5
	v_cmp_gt_u32_e32 vcc, 32, v1
	v_cmp_lt_u32_e64 s[0:1], 31, v1
	s_and_saveexec_b64 s[22:23], s[0:1]
	s_xor_b64 s[0:1], exec, s[22:23]
	s_cbranch_execnz .LBB0_31
; %bb.29:                               ;   in Loop: Header=BB0_28 Depth=2
	s_andn2_saveexec_b64 s[22:23], s[0:1]
	s_cbranch_execnz .LBB0_32
.LBB0_30:                               ;   in Loop: Header=BB0_28 Depth=2
	s_or_b64 exec, exec, s[22:23]
	s_mov_b64 s[0:1], -1
	s_and_saveexec_b64 s[22:23], vcc
	s_cbranch_execz .LBB0_27
	s_branch .LBB0_33
.LBB0_31:                               ;   in Loop: Header=BB0_28 Depth=2
	v_min_i32_e32 v25, v3, v25
                                        ; implicit-def: $vgpr1
                                        ; implicit-def: $vgpr6_vgpr7
	s_andn2_saveexec_b64 s[22:23], s[0:1]
	s_cbranch_execz .LBB0_30
.LBB0_32:                               ;   in Loop: Header=BB0_28 Depth=2
	v_mov_b32_e32 v3, s17
	v_add_co_u32_e64 v6, s[0:1], s16, v6
	v_addc_co_u32_e64 v7, s[0:1], v3, v7, s[0:1]
	global_load_dword v3, v[6:7], off
	v_lshl_add_u32 v6, v1, 2, v12
	ds_read_b32 v7, v6
	v_add_u32_e32 v1, v8, v1
	ds_write_b8 v1, v24
	s_waitcnt vmcnt(0) lgkmcnt(1)
	v_fmac_f32_e32 v7, v10, v3
	ds_write_b32 v6, v7
	s_or_b64 exec, exec, s[22:23]
	s_mov_b64 s[0:1], -1
	s_and_saveexec_b64 s[22:23], vcc
	s_cbranch_execz .LBB0_27
.LBB0_33:                               ;   in Loop: Header=BB0_28 Depth=2
	v_add_u32_e32 v2, 32, v2
	v_cmp_ge_i32_e32 vcc, v2, v14
	s_orn2_b64 s[0:1], vcc, exec
	s_branch .LBB0_27
.LBB0_34:                               ;   in Loop: Header=BB0_15 Depth=1
	s_or_b64 exec, exec, s[20:21]
.LBB0_35:                               ;   in Loop: Header=BB0_15 Depth=1
	s_or_b64 exec, exec, s[10:11]
	s_waitcnt lgkmcnt(0)
	ds_read_u8 v1, v26
	s_waitcnt lgkmcnt(0)
	v_and_b32_e32 v3, 1, v1
	v_cmp_eq_u32_e64 s[0:1], 1, v3
	v_cmp_ne_u16_e32 vcc, 0, v1
	s_and_saveexec_b64 s[10:11], s[0:1]
	s_cbranch_execz .LBB0_14
; %bb.36:                               ;   in Loop: Header=BB0_15 Depth=1
	v_and_b32_e32 v1, vcc_lo, v18
	v_bcnt_u32_b32 v1, v1, 0
	v_add3_u32 v3, v15, v1, -1
	v_lshlrev_b64 v[5:6], 2, v[3:4]
	ds_read_b32 v3, v17
	v_mov_b32_e32 v1, s13
	v_add_co_u32_e64 v5, s[0:1], s12, v5
	v_addc_co_u32_e64 v6, s[0:1], v1, v6, s[0:1]
	s_waitcnt lgkmcnt(0)
	global_store_dword v[5:6], v3, off
	s_branch .LBB0_14
.LBB0_37:
	s_endpgm
	.section	.rodata,"a",@progbits
	.p2align	6, 0x0
	.amdhsa_kernel _ZN9rocsparseL37csrgeam_fill_numeric_multipass_kernelILj256ELj32EiifEEvllNS_24const_host_device_scalarIT3_EEPKT1_PKT2_PKS2_S3_S6_S9_SB_S6_PS2_21rocsparse_index_base_SD_SD_bbb
		.amdhsa_group_segment_fixed_size 1280
		.amdhsa_private_segment_fixed_size 0
		.amdhsa_kernarg_size 112
		.amdhsa_user_sgpr_count 6
		.amdhsa_user_sgpr_private_segment_buffer 1
		.amdhsa_user_sgpr_dispatch_ptr 0
		.amdhsa_user_sgpr_queue_ptr 0
		.amdhsa_user_sgpr_kernarg_segment_ptr 1
		.amdhsa_user_sgpr_dispatch_id 0
		.amdhsa_user_sgpr_flat_scratch_init 0
		.amdhsa_user_sgpr_private_segment_size 0
		.amdhsa_uses_dynamic_stack 0
		.amdhsa_system_sgpr_private_segment_wavefront_offset 0
		.amdhsa_system_sgpr_workgroup_id_x 1
		.amdhsa_system_sgpr_workgroup_id_y 0
		.amdhsa_system_sgpr_workgroup_id_z 0
		.amdhsa_system_sgpr_workgroup_info 0
		.amdhsa_system_vgpr_workitem_id 0
		.amdhsa_next_free_vgpr 29
		.amdhsa_next_free_sgpr 24
		.amdhsa_reserve_vcc 1
		.amdhsa_reserve_flat_scratch 0
		.amdhsa_float_round_mode_32 0
		.amdhsa_float_round_mode_16_64 0
		.amdhsa_float_denorm_mode_32 3
		.amdhsa_float_denorm_mode_16_64 3
		.amdhsa_dx10_clamp 1
		.amdhsa_ieee_mode 1
		.amdhsa_fp16_overflow 0
		.amdhsa_exception_fp_ieee_invalid_op 0
		.amdhsa_exception_fp_denorm_src 0
		.amdhsa_exception_fp_ieee_div_zero 0
		.amdhsa_exception_fp_ieee_overflow 0
		.amdhsa_exception_fp_ieee_underflow 0
		.amdhsa_exception_fp_ieee_inexact 0
		.amdhsa_exception_int_div_zero 0
	.end_amdhsa_kernel
	.section	.text._ZN9rocsparseL37csrgeam_fill_numeric_multipass_kernelILj256ELj32EiifEEvllNS_24const_host_device_scalarIT3_EEPKT1_PKT2_PKS2_S3_S6_S9_SB_S6_PS2_21rocsparse_index_base_SD_SD_bbb,"axG",@progbits,_ZN9rocsparseL37csrgeam_fill_numeric_multipass_kernelILj256ELj32EiifEEvllNS_24const_host_device_scalarIT3_EEPKT1_PKT2_PKS2_S3_S6_S9_SB_S6_PS2_21rocsparse_index_base_SD_SD_bbb,comdat
.Lfunc_end0:
	.size	_ZN9rocsparseL37csrgeam_fill_numeric_multipass_kernelILj256ELj32EiifEEvllNS_24const_host_device_scalarIT3_EEPKT1_PKT2_PKS2_S3_S6_S9_SB_S6_PS2_21rocsparse_index_base_SD_SD_bbb, .Lfunc_end0-_ZN9rocsparseL37csrgeam_fill_numeric_multipass_kernelILj256ELj32EiifEEvllNS_24const_host_device_scalarIT3_EEPKT1_PKT2_PKS2_S3_S6_S9_SB_S6_PS2_21rocsparse_index_base_SD_SD_bbb
                                        ; -- End function
	.set _ZN9rocsparseL37csrgeam_fill_numeric_multipass_kernelILj256ELj32EiifEEvllNS_24const_host_device_scalarIT3_EEPKT1_PKT2_PKS2_S3_S6_S9_SB_S6_PS2_21rocsparse_index_base_SD_SD_bbb.num_vgpr, 29
	.set _ZN9rocsparseL37csrgeam_fill_numeric_multipass_kernelILj256ELj32EiifEEvllNS_24const_host_device_scalarIT3_EEPKT1_PKT2_PKS2_S3_S6_S9_SB_S6_PS2_21rocsparse_index_base_SD_SD_bbb.num_agpr, 0
	.set _ZN9rocsparseL37csrgeam_fill_numeric_multipass_kernelILj256ELj32EiifEEvllNS_24const_host_device_scalarIT3_EEPKT1_PKT2_PKS2_S3_S6_S9_SB_S6_PS2_21rocsparse_index_base_SD_SD_bbb.numbered_sgpr, 24
	.set _ZN9rocsparseL37csrgeam_fill_numeric_multipass_kernelILj256ELj32EiifEEvllNS_24const_host_device_scalarIT3_EEPKT1_PKT2_PKS2_S3_S6_S9_SB_S6_PS2_21rocsparse_index_base_SD_SD_bbb.num_named_barrier, 0
	.set _ZN9rocsparseL37csrgeam_fill_numeric_multipass_kernelILj256ELj32EiifEEvllNS_24const_host_device_scalarIT3_EEPKT1_PKT2_PKS2_S3_S6_S9_SB_S6_PS2_21rocsparse_index_base_SD_SD_bbb.private_seg_size, 0
	.set _ZN9rocsparseL37csrgeam_fill_numeric_multipass_kernelILj256ELj32EiifEEvllNS_24const_host_device_scalarIT3_EEPKT1_PKT2_PKS2_S3_S6_S9_SB_S6_PS2_21rocsparse_index_base_SD_SD_bbb.uses_vcc, 1
	.set _ZN9rocsparseL37csrgeam_fill_numeric_multipass_kernelILj256ELj32EiifEEvllNS_24const_host_device_scalarIT3_EEPKT1_PKT2_PKS2_S3_S6_S9_SB_S6_PS2_21rocsparse_index_base_SD_SD_bbb.uses_flat_scratch, 0
	.set _ZN9rocsparseL37csrgeam_fill_numeric_multipass_kernelILj256ELj32EiifEEvllNS_24const_host_device_scalarIT3_EEPKT1_PKT2_PKS2_S3_S6_S9_SB_S6_PS2_21rocsparse_index_base_SD_SD_bbb.has_dyn_sized_stack, 0
	.set _ZN9rocsparseL37csrgeam_fill_numeric_multipass_kernelILj256ELj32EiifEEvllNS_24const_host_device_scalarIT3_EEPKT1_PKT2_PKS2_S3_S6_S9_SB_S6_PS2_21rocsparse_index_base_SD_SD_bbb.has_recursion, 0
	.set _ZN9rocsparseL37csrgeam_fill_numeric_multipass_kernelILj256ELj32EiifEEvllNS_24const_host_device_scalarIT3_EEPKT1_PKT2_PKS2_S3_S6_S9_SB_S6_PS2_21rocsparse_index_base_SD_SD_bbb.has_indirect_call, 0
	.section	.AMDGPU.csdata,"",@progbits
; Kernel info:
; codeLenInByte = 1432
; TotalNumSgprs: 28
; NumVgprs: 29
; ScratchSize: 0
; MemoryBound: 0
; FloatMode: 240
; IeeeMode: 1
; LDSByteSize: 1280 bytes/workgroup (compile time only)
; SGPRBlocks: 3
; VGPRBlocks: 7
; NumSGPRsForWavesPerEU: 28
; NumVGPRsForWavesPerEU: 29
; Occupancy: 8
; WaveLimiterHint : 1
; COMPUTE_PGM_RSRC2:SCRATCH_EN: 0
; COMPUTE_PGM_RSRC2:USER_SGPR: 6
; COMPUTE_PGM_RSRC2:TRAP_HANDLER: 0
; COMPUTE_PGM_RSRC2:TGID_X_EN: 1
; COMPUTE_PGM_RSRC2:TGID_Y_EN: 0
; COMPUTE_PGM_RSRC2:TGID_Z_EN: 0
; COMPUTE_PGM_RSRC2:TIDIG_COMP_CNT: 0
	.section	.text._ZN9rocsparseL37csrgeam_fill_numeric_multipass_kernelILj256ELj64EiifEEvllNS_24const_host_device_scalarIT3_EEPKT1_PKT2_PKS2_S3_S6_S9_SB_S6_PS2_21rocsparse_index_base_SD_SD_bbb,"axG",@progbits,_ZN9rocsparseL37csrgeam_fill_numeric_multipass_kernelILj256ELj64EiifEEvllNS_24const_host_device_scalarIT3_EEPKT1_PKT2_PKS2_S3_S6_S9_SB_S6_PS2_21rocsparse_index_base_SD_SD_bbb,comdat
	.globl	_ZN9rocsparseL37csrgeam_fill_numeric_multipass_kernelILj256ELj64EiifEEvllNS_24const_host_device_scalarIT3_EEPKT1_PKT2_PKS2_S3_S6_S9_SB_S6_PS2_21rocsparse_index_base_SD_SD_bbb ; -- Begin function _ZN9rocsparseL37csrgeam_fill_numeric_multipass_kernelILj256ELj64EiifEEvllNS_24const_host_device_scalarIT3_EEPKT1_PKT2_PKS2_S3_S6_S9_SB_S6_PS2_21rocsparse_index_base_SD_SD_bbb
	.p2align	8
	.type	_ZN9rocsparseL37csrgeam_fill_numeric_multipass_kernelILj256ELj64EiifEEvllNS_24const_host_device_scalarIT3_EEPKT1_PKT2_PKS2_S3_S6_S9_SB_S6_PS2_21rocsparse_index_base_SD_SD_bbb,@function
_ZN9rocsparseL37csrgeam_fill_numeric_multipass_kernelILj256ELj64EiifEEvllNS_24const_host_device_scalarIT3_EEPKT1_PKT2_PKS2_S3_S6_S9_SB_S6_PS2_21rocsparse_index_base_SD_SD_bbb: ; @_ZN9rocsparseL37csrgeam_fill_numeric_multipass_kernelILj256ELj64EiifEEvllNS_24const_host_device_scalarIT3_EEPKT1_PKT2_PKS2_S3_S6_S9_SB_S6_PS2_21rocsparse_index_base_SD_SD_bbb
; %bb.0:
	s_load_dwordx4 s[8:11], s[4:5], 0x60
	s_load_dwordx2 s[2:3], s[4:5], 0x30
	s_load_dword s7, s[4:5], 0x6c
	s_load_dwordx4 s[12:15], s[4:5], 0x0
	s_load_dwordx2 s[18:19], s[4:5], 0x10
	s_waitcnt lgkmcnt(0)
	s_bitcmp1_b32 s11, 0
	s_cselect_b64 s[0:1], -1, 0
	s_bitcmp1_b32 s7, 16
	s_cselect_b64 s[16:17], -1, 0
	s_xor_b64 s[20:21], s[0:1], -1
	s_or_b64 s[20:21], s[16:17], s[20:21]
	s_and_b64 vcc, exec, s[20:21]
	s_cbranch_vccnz .LBB1_2
; %bb.1:
	s_load_dword s0, s[18:19], 0x0
	s_waitcnt lgkmcnt(0)
	v_mov_b32_e32 v11, s0
	s_branch .LBB1_3
.LBB1_2:
	v_mov_b32_e32 v1, s18
	v_cndmask_b32_e64 v11, 0, v1, s[0:1]
.LBB1_3:
	s_bitcmp1_b32 s7, 8
	s_cselect_b64 s[0:1], -1, 0
	s_xor_b64 s[18:19], s[0:1], -1
	s_or_b64 s[16:17], s[16:17], s[18:19]
	s_and_b64 vcc, exec, s[16:17]
	s_cbranch_vccnz .LBB1_5
; %bb.4:
	s_load_dword s0, s[2:3], 0x0
	s_waitcnt lgkmcnt(0)
	v_mov_b32_e32 v12, s0
	s_branch .LBB1_6
.LBB1_5:
	v_mov_b32_e32 v1, s2
	v_cndmask_b32_e64 v12, 0, v1, s[0:1]
.LBB1_6:
	s_lshl_b32 s0, s6, 2
	v_lshrrev_b32_e32 v1, 6, v0
	s_and_b32 s0, s0, 0x3fffffc
	v_or_b32_e32 v1, s0, v1
	v_mov_b32_e32 v2, 0
	v_cmp_gt_i64_e32 vcc, s[12:13], v[1:2]
	s_and_saveexec_b64 s[0:1], vcc
	s_cbranch_execz .LBB1_37
; %bb.7:
	s_load_dwordx4 s[0:3], s[4:5], 0x18
	s_load_dwordx2 s[6:7], s[4:5], 0x38
	s_load_dwordx2 s[12:13], s[4:5], 0x50
	v_lshlrev_b32_e32 v5, 2, v1
	s_waitcnt lgkmcnt(0)
	global_load_dwordx2 v[3:4], v5, s[0:1]
	global_load_dwordx2 v[1:2], v5, s[6:7]
	global_load_dword v9, v5, s[12:13]
	s_waitcnt vmcnt(2)
	v_cmp_ge_i32_e32 vcc, v3, v4
	s_and_saveexec_b64 s[0:1], vcc
	s_xor_b64 s[0:1], exec, s[0:1]
	s_or_saveexec_b64 s[0:1], s[0:1]
	v_subrev_u32_e32 v5, s8, v3
	v_mov_b32_e32 v3, s14
	s_xor_b64 exec, exec, s[0:1]
	s_cbranch_execz .LBB1_9
; %bb.8:
	v_ashrrev_i32_e32 v6, 31, v5
	v_lshlrev_b64 v[6:7], 2, v[5:6]
	v_mov_b32_e32 v3, s3
	v_add_co_u32_e32 v6, vcc, s2, v6
	v_addc_co_u32_e32 v7, vcc, v3, v7, vcc
	global_load_dword v3, v[6:7], off
	s_waitcnt vmcnt(0)
	v_subrev_u32_e32 v3, s8, v3
.LBB1_9:
	s_or_b64 exec, exec, s[0:1]
	s_load_dwordx2 s[6:7], s[4:5], 0x40
	s_waitcnt vmcnt(1)
	v_cmp_ge_i32_e32 vcc, v1, v2
	v_mov_b32_e32 v13, s14
	s_and_saveexec_b64 s[0:1], vcc
	s_xor_b64 s[0:1], exec, s[0:1]
; %bb.10:
	v_mov_b32_e32 v13, s14
; %bb.11:
	s_or_saveexec_b64 s[0:1], s[0:1]
	s_load_dwordx2 s[12:13], s[4:5], 0x58
	s_load_dwordx2 s[16:17], s[4:5], 0x48
	;; [unrolled: 1-line block ×3, first 2 shown]
	v_subrev_u32_e32 v7, s9, v1
	v_mov_b32_e32 v1, v13
	s_xor_b64 exec, exec, s[0:1]
	s_cbranch_execz .LBB1_13
; %bb.12:
	v_ashrrev_i32_e32 v8, 31, v7
	v_lshlrev_b64 v[14:15], 2, v[7:8]
	s_waitcnt lgkmcnt(0)
	v_mov_b32_e32 v1, s7
	v_add_co_u32_e32 v14, vcc, s6, v14
	v_addc_co_u32_e32 v15, vcc, v1, v15, vcc
	global_load_dword v1, v[14:15], off
	s_waitcnt vmcnt(0)
	v_subrev_u32_e32 v1, s9, v1
.LBB1_13:
	s_or_b64 exec, exec, s[0:1]
	v_and_b32_e32 v6, 0xc0, v0
	v_or_b32_e32 v14, 0x400, v6
	v_lshlrev_b32_e32 v15, 2, v6
	v_min_i32_e32 v6, v1, v3
	v_mbcnt_lo_u32_b32 v1, -1, 0
	v_mbcnt_hi_u32_b32 v1, -1, v1
	v_and_b32_e32 v3, 64, v1
	v_subrev_u32_e32 v16, s8, v4
	v_and_b32_e32 v19, 63, v0
	v_add_u32_e32 v3, 64, v3
	v_xor_b32_e32 v4, 32, v1
	v_add_u32_e32 v0, v5, v19
	v_xor_b32_e32 v5, 16, v1
	v_cmp_lt_i32_e32 vcc, v4, v3
	v_subrev_u32_e32 v17, s9, v2
	v_add_u32_e32 v2, v7, v19
	v_xor_b32_e32 v7, 8, v1
	v_cndmask_b32_e32 v4, v1, v4, vcc
	v_cmp_lt_i32_e32 vcc, v5, v3
	v_xor_b32_e32 v8, 4, v1
	v_cndmask_b32_e32 v5, v1, v5, vcc
	v_cmp_lt_i32_e32 vcc, v7, v3
	s_waitcnt vmcnt(0)
	v_subrev_u32_e32 v18, s10, v9
	v_xor_b32_e32 v9, 2, v1
	v_cndmask_b32_e32 v7, v1, v7, vcc
	v_cmp_lt_i32_e32 vcc, v8, v3
	v_xor_b32_e32 v10, 1, v1
	v_cndmask_b32_e32 v8, v1, v8, vcc
	v_cmp_lt_i32_e32 vcc, v9, v3
	v_cndmask_b32_e32 v9, v1, v9, vcc
	v_cmp_lt_i32_e32 vcc, v10, v3
	v_xor_b32_e32 v3, 63, v19
	v_cndmask_b32_e32 v1, v1, v10, vcc
	v_lshlrev_b32_e32 v21, 2, v4
	v_lshlrev_b32_e32 v22, 2, v5
	v_lshrrev_b64 v[4:5], v3, -1
	v_lshl_or_b32 v20, v19, 2, v15
	v_lshlrev_b32_e32 v23, 2, v7
	v_lshlrev_b32_e32 v24, 2, v8
	;; [unrolled: 1-line block ×4, first 2 shown]
	s_mov_b64 s[4:5], 0
	v_mov_b32_e32 v27, 1
	v_mov_b32_e32 v8, 0
	s_branch .LBB1_15
.LBB1_14:                               ;   in Loop: Header=BB1_15 Depth=1
	s_or_b64 exec, exec, s[10:11]
	ds_bpermute_b32 v1, v21, v28
	s_bcnt1_i32_b64 s10, vcc
	v_add_u32_e32 v18, s10, v18
	s_waitcnt lgkmcnt(0)
	v_min_i32_e32 v1, v1, v28
	ds_bpermute_b32 v3, v22, v1
	s_waitcnt lgkmcnt(0)
	v_min_i32_e32 v1, v3, v1
	ds_bpermute_b32 v3, v23, v1
	;; [unrolled: 3-line block ×5, first 2 shown]
	s_waitcnt lgkmcnt(0)
	v_min_i32_e32 v6, v3, v1
	v_ashrrev_i32_e32 v7, 31, v6
	v_cmp_le_i64_e64 s[0:1], s[14:15], v[6:7]
	s_or_b64 s[4:5], s[0:1], s[4:5]
	s_andn2_b64 exec, exec, s[4:5]
	s_cbranch_execz .LBB1_37
.LBB1_15:                               ; =>This Loop Header: Depth=1
                                        ;     Child Loop BB1_18 Depth 2
                                        ;     Child Loop BB1_28 Depth 2
	v_add_u32_e32 v7, v14, v19
	v_cmp_lt_i32_e32 vcc, v0, v16
	v_mov_b32_e32 v28, v13
	ds_write_b8 v7, v8
	ds_write_b32 v20, v8
	s_waitcnt lgkmcnt(0)
	s_and_saveexec_b64 s[10:11], vcc
	s_cbranch_execz .LBB1_25
; %bb.16:                               ;   in Loop: Header=BB1_15 Depth=1
	s_mov_b64 s[20:21], 0
	v_mov_b32_e32 v28, v13
	s_branch .LBB1_18
.LBB1_17:                               ;   in Loop: Header=BB1_18 Depth=2
	s_or_b64 exec, exec, s[22:23]
	s_and_b64 s[0:1], exec, s[0:1]
	s_or_b64 s[20:21], s[0:1], s[20:21]
	s_andn2_b64 exec, exec, s[20:21]
	s_cbranch_execz .LBB1_24
.LBB1_18:                               ;   Parent Loop BB1_15 Depth=1
                                        ; =>  This Inner Loop Header: Depth=2
	v_ashrrev_i32_e32 v1, 31, v0
	v_lshlrev_b64 v[9:10], 2, v[0:1]
	v_mov_b32_e32 v1, s3
	v_add_co_u32_e32 v29, vcc, s2, v9
	v_addc_co_u32_e32 v30, vcc, v1, v10, vcc
	global_load_dword v1, v[29:30], off
	s_waitcnt vmcnt(0)
	v_subrev_u32_e32 v3, s8, v1
	v_sub_u32_e32 v1, v3, v6
	v_cmp_gt_u32_e32 vcc, 64, v1
	v_cmp_lt_u32_e64 s[0:1], 63, v1
	s_and_saveexec_b64 s[22:23], s[0:1]
	s_xor_b64 s[0:1], exec, s[22:23]
	s_cbranch_execnz .LBB1_21
; %bb.19:                               ;   in Loop: Header=BB1_18 Depth=2
	s_andn2_saveexec_b64 s[22:23], s[0:1]
	s_cbranch_execnz .LBB1_22
.LBB1_20:                               ;   in Loop: Header=BB1_18 Depth=2
	s_or_b64 exec, exec, s[22:23]
	s_mov_b64 s[0:1], -1
	s_and_saveexec_b64 s[22:23], vcc
	s_cbranch_execz .LBB1_17
	s_branch .LBB1_23
.LBB1_21:                               ;   in Loop: Header=BB1_18 Depth=2
	v_min_i32_e32 v28, v3, v28
                                        ; implicit-def: $vgpr1
                                        ; implicit-def: $vgpr9_vgpr10
	s_andn2_saveexec_b64 s[22:23], s[0:1]
	s_cbranch_execz .LBB1_20
.LBB1_22:                               ;   in Loop: Header=BB1_18 Depth=2
	v_mov_b32_e32 v3, s19
	v_add_co_u32_e64 v9, s[0:1], s18, v9
	v_addc_co_u32_e64 v10, s[0:1], v3, v10, s[0:1]
	global_load_dword v3, v[9:10], off
	v_add_u32_e32 v9, v14, v1
	v_lshl_add_u32 v1, v1, 2, v15
	ds_write_b8 v9, v27
	s_waitcnt vmcnt(0)
	v_mul_f32_e32 v3, v11, v3
	ds_write_b32 v1, v3
	s_or_b64 exec, exec, s[22:23]
	s_mov_b64 s[0:1], -1
	s_and_saveexec_b64 s[22:23], vcc
	s_cbranch_execz .LBB1_17
.LBB1_23:                               ;   in Loop: Header=BB1_18 Depth=2
	v_add_u32_e32 v0, 64, v0
	v_cmp_ge_i32_e32 vcc, v0, v16
	s_orn2_b64 s[0:1], vcc, exec
	s_branch .LBB1_17
.LBB1_24:                               ;   in Loop: Header=BB1_15 Depth=1
	s_or_b64 exec, exec, s[20:21]
.LBB1_25:                               ;   in Loop: Header=BB1_15 Depth=1
	s_or_b64 exec, exec, s[10:11]
	v_cmp_lt_i32_e32 vcc, v2, v17
	s_waitcnt lgkmcnt(0)
	s_and_saveexec_b64 s[10:11], vcc
	s_cbranch_execz .LBB1_35
; %bb.26:                               ;   in Loop: Header=BB1_15 Depth=1
	s_mov_b64 s[20:21], 0
	s_branch .LBB1_28
.LBB1_27:                               ;   in Loop: Header=BB1_28 Depth=2
	s_or_b64 exec, exec, s[22:23]
	s_and_b64 s[0:1], exec, s[0:1]
	s_or_b64 s[20:21], s[0:1], s[20:21]
	s_andn2_b64 exec, exec, s[20:21]
	s_cbranch_execz .LBB1_34
.LBB1_28:                               ;   Parent Loop BB1_15 Depth=1
                                        ; =>  This Inner Loop Header: Depth=2
	v_ashrrev_i32_e32 v3, 31, v2
	v_lshlrev_b64 v[9:10], 2, v[2:3]
	v_mov_b32_e32 v1, s7
	v_add_co_u32_e32 v29, vcc, s6, v9
	v_addc_co_u32_e32 v30, vcc, v1, v10, vcc
	global_load_dword v1, v[29:30], off
	s_waitcnt vmcnt(0)
	v_subrev_u32_e32 v3, s9, v1
	v_sub_u32_e32 v1, v3, v6
	v_cmp_gt_u32_e32 vcc, 64, v1
	v_cmp_lt_u32_e64 s[0:1], 63, v1
	s_and_saveexec_b64 s[22:23], s[0:1]
	s_xor_b64 s[0:1], exec, s[22:23]
	s_cbranch_execnz .LBB1_31
; %bb.29:                               ;   in Loop: Header=BB1_28 Depth=2
	s_andn2_saveexec_b64 s[22:23], s[0:1]
	s_cbranch_execnz .LBB1_32
.LBB1_30:                               ;   in Loop: Header=BB1_28 Depth=2
	s_or_b64 exec, exec, s[22:23]
	s_mov_b64 s[0:1], -1
	s_and_saveexec_b64 s[22:23], vcc
	s_cbranch_execz .LBB1_27
	s_branch .LBB1_33
.LBB1_31:                               ;   in Loop: Header=BB1_28 Depth=2
	v_min_i32_e32 v28, v3, v28
                                        ; implicit-def: $vgpr1
                                        ; implicit-def: $vgpr9_vgpr10
	s_andn2_saveexec_b64 s[22:23], s[0:1]
	s_cbranch_execz .LBB1_30
.LBB1_32:                               ;   in Loop: Header=BB1_28 Depth=2
	v_mov_b32_e32 v3, s17
	v_add_co_u32_e64 v9, s[0:1], s16, v9
	v_addc_co_u32_e64 v10, s[0:1], v3, v10, s[0:1]
	global_load_dword v3, v[9:10], off
	v_lshl_add_u32 v9, v1, 2, v15
	ds_read_b32 v10, v9
	v_add_u32_e32 v1, v14, v1
	ds_write_b8 v1, v27
	s_waitcnt vmcnt(0) lgkmcnt(1)
	v_fmac_f32_e32 v10, v12, v3
	ds_write_b32 v9, v10
	s_or_b64 exec, exec, s[22:23]
	s_mov_b64 s[0:1], -1
	s_and_saveexec_b64 s[22:23], vcc
	s_cbranch_execz .LBB1_27
.LBB1_33:                               ;   in Loop: Header=BB1_28 Depth=2
	v_add_u32_e32 v2, 64, v2
	v_cmp_ge_i32_e32 vcc, v2, v17
	s_orn2_b64 s[0:1], vcc, exec
	s_branch .LBB1_27
.LBB1_34:                               ;   in Loop: Header=BB1_15 Depth=1
	s_or_b64 exec, exec, s[20:21]
.LBB1_35:                               ;   in Loop: Header=BB1_15 Depth=1
	s_or_b64 exec, exec, s[10:11]
	s_waitcnt lgkmcnt(0)
	ds_read_u8 v1, v7
	s_waitcnt lgkmcnt(0)
	v_and_b32_e32 v3, 1, v1
	v_cmp_eq_u32_e64 s[0:1], 1, v3
	v_cmp_ne_u16_e32 vcc, 0, v1
	s_and_saveexec_b64 s[10:11], s[0:1]
	s_cbranch_execz .LBB1_14
; %bb.36:                               ;   in Loop: Header=BB1_15 Depth=1
	v_and_b32_e32 v3, vcc_lo, v4
	v_and_b32_e32 v1, vcc_hi, v5
	v_bcnt_u32_b32 v3, v3, 0
	v_bcnt_u32_b32 v1, v1, v3
	v_add3_u32 v7, v18, v1, -1
	ds_read_b32 v3, v20
	v_lshlrev_b64 v[6:7], 2, v[7:8]
	v_mov_b32_e32 v1, s13
	v_add_co_u32_e64 v6, s[0:1], s12, v6
	v_addc_co_u32_e64 v7, s[0:1], v1, v7, s[0:1]
	s_waitcnt lgkmcnt(0)
	global_store_dword v[6:7], v3, off
	s_branch .LBB1_14
.LBB1_37:
	s_endpgm
	.section	.rodata,"a",@progbits
	.p2align	6, 0x0
	.amdhsa_kernel _ZN9rocsparseL37csrgeam_fill_numeric_multipass_kernelILj256ELj64EiifEEvllNS_24const_host_device_scalarIT3_EEPKT1_PKT2_PKS2_S3_S6_S9_SB_S6_PS2_21rocsparse_index_base_SD_SD_bbb
		.amdhsa_group_segment_fixed_size 1280
		.amdhsa_private_segment_fixed_size 0
		.amdhsa_kernarg_size 112
		.amdhsa_user_sgpr_count 6
		.amdhsa_user_sgpr_private_segment_buffer 1
		.amdhsa_user_sgpr_dispatch_ptr 0
		.amdhsa_user_sgpr_queue_ptr 0
		.amdhsa_user_sgpr_kernarg_segment_ptr 1
		.amdhsa_user_sgpr_dispatch_id 0
		.amdhsa_user_sgpr_flat_scratch_init 0
		.amdhsa_user_sgpr_private_segment_size 0
		.amdhsa_uses_dynamic_stack 0
		.amdhsa_system_sgpr_private_segment_wavefront_offset 0
		.amdhsa_system_sgpr_workgroup_id_x 1
		.amdhsa_system_sgpr_workgroup_id_y 0
		.amdhsa_system_sgpr_workgroup_id_z 0
		.amdhsa_system_sgpr_workgroup_info 0
		.amdhsa_system_vgpr_workitem_id 0
		.amdhsa_next_free_vgpr 31
		.amdhsa_next_free_sgpr 24
		.amdhsa_reserve_vcc 1
		.amdhsa_reserve_flat_scratch 0
		.amdhsa_float_round_mode_32 0
		.amdhsa_float_round_mode_16_64 0
		.amdhsa_float_denorm_mode_32 3
		.amdhsa_float_denorm_mode_16_64 3
		.amdhsa_dx10_clamp 1
		.amdhsa_ieee_mode 1
		.amdhsa_fp16_overflow 0
		.amdhsa_exception_fp_ieee_invalid_op 0
		.amdhsa_exception_fp_denorm_src 0
		.amdhsa_exception_fp_ieee_div_zero 0
		.amdhsa_exception_fp_ieee_overflow 0
		.amdhsa_exception_fp_ieee_underflow 0
		.amdhsa_exception_fp_ieee_inexact 0
		.amdhsa_exception_int_div_zero 0
	.end_amdhsa_kernel
	.section	.text._ZN9rocsparseL37csrgeam_fill_numeric_multipass_kernelILj256ELj64EiifEEvllNS_24const_host_device_scalarIT3_EEPKT1_PKT2_PKS2_S3_S6_S9_SB_S6_PS2_21rocsparse_index_base_SD_SD_bbb,"axG",@progbits,_ZN9rocsparseL37csrgeam_fill_numeric_multipass_kernelILj256ELj64EiifEEvllNS_24const_host_device_scalarIT3_EEPKT1_PKT2_PKS2_S3_S6_S9_SB_S6_PS2_21rocsparse_index_base_SD_SD_bbb,comdat
.Lfunc_end1:
	.size	_ZN9rocsparseL37csrgeam_fill_numeric_multipass_kernelILj256ELj64EiifEEvllNS_24const_host_device_scalarIT3_EEPKT1_PKT2_PKS2_S3_S6_S9_SB_S6_PS2_21rocsparse_index_base_SD_SD_bbb, .Lfunc_end1-_ZN9rocsparseL37csrgeam_fill_numeric_multipass_kernelILj256ELj64EiifEEvllNS_24const_host_device_scalarIT3_EEPKT1_PKT2_PKS2_S3_S6_S9_SB_S6_PS2_21rocsparse_index_base_SD_SD_bbb
                                        ; -- End function
	.set _ZN9rocsparseL37csrgeam_fill_numeric_multipass_kernelILj256ELj64EiifEEvllNS_24const_host_device_scalarIT3_EEPKT1_PKT2_PKS2_S3_S6_S9_SB_S6_PS2_21rocsparse_index_base_SD_SD_bbb.num_vgpr, 31
	.set _ZN9rocsparseL37csrgeam_fill_numeric_multipass_kernelILj256ELj64EiifEEvllNS_24const_host_device_scalarIT3_EEPKT1_PKT2_PKS2_S3_S6_S9_SB_S6_PS2_21rocsparse_index_base_SD_SD_bbb.num_agpr, 0
	.set _ZN9rocsparseL37csrgeam_fill_numeric_multipass_kernelILj256ELj64EiifEEvllNS_24const_host_device_scalarIT3_EEPKT1_PKT2_PKS2_S3_S6_S9_SB_S6_PS2_21rocsparse_index_base_SD_SD_bbb.numbered_sgpr, 24
	.set _ZN9rocsparseL37csrgeam_fill_numeric_multipass_kernelILj256ELj64EiifEEvllNS_24const_host_device_scalarIT3_EEPKT1_PKT2_PKS2_S3_S6_S9_SB_S6_PS2_21rocsparse_index_base_SD_SD_bbb.num_named_barrier, 0
	.set _ZN9rocsparseL37csrgeam_fill_numeric_multipass_kernelILj256ELj64EiifEEvllNS_24const_host_device_scalarIT3_EEPKT1_PKT2_PKS2_S3_S6_S9_SB_S6_PS2_21rocsparse_index_base_SD_SD_bbb.private_seg_size, 0
	.set _ZN9rocsparseL37csrgeam_fill_numeric_multipass_kernelILj256ELj64EiifEEvllNS_24const_host_device_scalarIT3_EEPKT1_PKT2_PKS2_S3_S6_S9_SB_S6_PS2_21rocsparse_index_base_SD_SD_bbb.uses_vcc, 1
	.set _ZN9rocsparseL37csrgeam_fill_numeric_multipass_kernelILj256ELj64EiifEEvllNS_24const_host_device_scalarIT3_EEPKT1_PKT2_PKS2_S3_S6_S9_SB_S6_PS2_21rocsparse_index_base_SD_SD_bbb.uses_flat_scratch, 0
	.set _ZN9rocsparseL37csrgeam_fill_numeric_multipass_kernelILj256ELj64EiifEEvllNS_24const_host_device_scalarIT3_EEPKT1_PKT2_PKS2_S3_S6_S9_SB_S6_PS2_21rocsparse_index_base_SD_SD_bbb.has_dyn_sized_stack, 0
	.set _ZN9rocsparseL37csrgeam_fill_numeric_multipass_kernelILj256ELj64EiifEEvllNS_24const_host_device_scalarIT3_EEPKT1_PKT2_PKS2_S3_S6_S9_SB_S6_PS2_21rocsparse_index_base_SD_SD_bbb.has_recursion, 0
	.set _ZN9rocsparseL37csrgeam_fill_numeric_multipass_kernelILj256ELj64EiifEEvllNS_24const_host_device_scalarIT3_EEPKT1_PKT2_PKS2_S3_S6_S9_SB_S6_PS2_21rocsparse_index_base_SD_SD_bbb.has_indirect_call, 0
	.section	.AMDGPU.csdata,"",@progbits
; Kernel info:
; codeLenInByte = 1476
; TotalNumSgprs: 28
; NumVgprs: 31
; ScratchSize: 0
; MemoryBound: 0
; FloatMode: 240
; IeeeMode: 1
; LDSByteSize: 1280 bytes/workgroup (compile time only)
; SGPRBlocks: 3
; VGPRBlocks: 7
; NumSGPRsForWavesPerEU: 28
; NumVGPRsForWavesPerEU: 31
; Occupancy: 8
; WaveLimiterHint : 1
; COMPUTE_PGM_RSRC2:SCRATCH_EN: 0
; COMPUTE_PGM_RSRC2:USER_SGPR: 6
; COMPUTE_PGM_RSRC2:TRAP_HANDLER: 0
; COMPUTE_PGM_RSRC2:TGID_X_EN: 1
; COMPUTE_PGM_RSRC2:TGID_Y_EN: 0
; COMPUTE_PGM_RSRC2:TGID_Z_EN: 0
; COMPUTE_PGM_RSRC2:TIDIG_COMP_CNT: 0
	.section	.text._ZN9rocsparseL37csrgeam_fill_numeric_multipass_kernelILj256ELj32ElifEEvllNS_24const_host_device_scalarIT3_EEPKT1_PKT2_PKS2_S3_S6_S9_SB_S6_PS2_21rocsparse_index_base_SD_SD_bbb,"axG",@progbits,_ZN9rocsparseL37csrgeam_fill_numeric_multipass_kernelILj256ELj32ElifEEvllNS_24const_host_device_scalarIT3_EEPKT1_PKT2_PKS2_S3_S6_S9_SB_S6_PS2_21rocsparse_index_base_SD_SD_bbb,comdat
	.globl	_ZN9rocsparseL37csrgeam_fill_numeric_multipass_kernelILj256ELj32ElifEEvllNS_24const_host_device_scalarIT3_EEPKT1_PKT2_PKS2_S3_S6_S9_SB_S6_PS2_21rocsparse_index_base_SD_SD_bbb ; -- Begin function _ZN9rocsparseL37csrgeam_fill_numeric_multipass_kernelILj256ELj32ElifEEvllNS_24const_host_device_scalarIT3_EEPKT1_PKT2_PKS2_S3_S6_S9_SB_S6_PS2_21rocsparse_index_base_SD_SD_bbb
	.p2align	8
	.type	_ZN9rocsparseL37csrgeam_fill_numeric_multipass_kernelILj256ELj32ElifEEvllNS_24const_host_device_scalarIT3_EEPKT1_PKT2_PKS2_S3_S6_S9_SB_S6_PS2_21rocsparse_index_base_SD_SD_bbb,@function
_ZN9rocsparseL37csrgeam_fill_numeric_multipass_kernelILj256ELj32ElifEEvllNS_24const_host_device_scalarIT3_EEPKT1_PKT2_PKS2_S3_S6_S9_SB_S6_PS2_21rocsparse_index_base_SD_SD_bbb: ; @_ZN9rocsparseL37csrgeam_fill_numeric_multipass_kernelILj256ELj32ElifEEvllNS_24const_host_device_scalarIT3_EEPKT1_PKT2_PKS2_S3_S6_S9_SB_S6_PS2_21rocsparse_index_base_SD_SD_bbb
; %bb.0:
	s_load_dwordx4 s[8:11], s[4:5], 0x60
	s_load_dwordx2 s[2:3], s[4:5], 0x30
	s_load_dword s7, s[4:5], 0x6c
	s_load_dwordx4 s[12:15], s[4:5], 0x0
	s_load_dwordx2 s[18:19], s[4:5], 0x10
	s_waitcnt lgkmcnt(0)
	s_bitcmp1_b32 s11, 0
	s_cselect_b64 s[0:1], -1, 0
	s_bitcmp1_b32 s7, 16
	s_cselect_b64 s[16:17], -1, 0
	s_xor_b64 s[20:21], s[0:1], -1
	s_or_b64 s[20:21], s[16:17], s[20:21]
	s_and_b64 vcc, exec, s[20:21]
	s_cbranch_vccnz .LBB2_2
; %bb.1:
	s_load_dword s0, s[18:19], 0x0
	s_waitcnt lgkmcnt(0)
	v_mov_b32_e32 v16, s0
	s_branch .LBB2_3
.LBB2_2:
	v_mov_b32_e32 v1, s18
	v_cndmask_b32_e64 v16, 0, v1, s[0:1]
.LBB2_3:
	s_bitcmp1_b32 s7, 8
	s_cselect_b64 s[0:1], -1, 0
	s_xor_b64 s[18:19], s[0:1], -1
	s_or_b64 s[16:17], s[16:17], s[18:19]
	s_and_b64 vcc, exec, s[16:17]
	s_cbranch_vccnz .LBB2_5
; %bb.4:
	s_load_dword s0, s[2:3], 0x0
	s_waitcnt lgkmcnt(0)
	v_mov_b32_e32 v17, s0
	s_branch .LBB2_6
.LBB2_5:
	v_mov_b32_e32 v1, s2
	v_cndmask_b32_e64 v17, 0, v1, s[0:1]
.LBB2_6:
	s_lshl_b32 s0, s6, 3
	v_lshrrev_b32_e32 v1, 5, v0
	s_and_b32 s0, s0, 0x7fffff8
	v_or_b32_e32 v1, s0, v1
	v_mov_b32_e32 v2, 0
	v_cmp_gt_i64_e32 vcc, s[12:13], v[1:2]
	s_and_saveexec_b64 s[0:1], vcc
	s_cbranch_execz .LBB2_37
; %bb.7:
	s_load_dwordx4 s[0:3], s[4:5], 0x18
	s_load_dwordx2 s[6:7], s[4:5], 0x50
	s_load_dwordx2 s[12:13], s[4:5], 0x38
	v_lshlrev_b32_e32 v9, 3, v1
	s_waitcnt lgkmcnt(0)
	global_load_dwordx4 v[1:4], v9, s[0:1]
	global_load_dwordx4 v[5:8], v9, s[12:13]
	global_load_dwordx2 v[11:12], v9, s[6:7]
	s_waitcnt vmcnt(2)
	v_cmp_ge_i64_e32 vcc, v[1:2], v[3:4]
	v_subrev_co_u32_e64 v9, s[0:1], s8, v1
	v_subbrev_co_u32_e64 v10, s[0:1], 0, v2, s[0:1]
	s_and_saveexec_b64 s[0:1], vcc
	s_xor_b64 s[0:1], exec, s[0:1]
	s_or_saveexec_b64 s[0:1], s[0:1]
	v_mov_b32_e32 v15, s14
	s_xor_b64 exec, exec, s[0:1]
	s_cbranch_execz .LBB2_9
; %bb.8:
	v_lshlrev_b64 v[1:2], 2, v[9:10]
	v_mov_b32_e32 v13, s3
	v_add_co_u32_e32 v1, vcc, s2, v1
	v_addc_co_u32_e32 v2, vcc, v13, v2, vcc
	global_load_dword v1, v[1:2], off
	s_waitcnt vmcnt(0)
	v_subrev_u32_e32 v15, s8, v1
.LBB2_9:
	s_or_b64 exec, exec, s[0:1]
	s_load_dwordx2 s[6:7], s[4:5], 0x40
	s_waitcnt vmcnt(1)
	v_subrev_co_u32_e32 v13, vcc, s9, v5
	v_subbrev_co_u32_e32 v14, vcc, 0, v6, vcc
	v_cmp_ge_i64_e32 vcc, v[5:6], v[7:8]
	s_mov_b32 s11, s9
	v_mov_b32_e32 v18, s14
	s_and_saveexec_b64 s[0:1], vcc
	s_xor_b64 s[0:1], exec, s[0:1]
; %bb.10:
	v_mov_b32_e32 v18, s14
; %bb.11:
	s_or_saveexec_b64 s[0:1], s[0:1]
	s_load_dwordx2 s[12:13], s[4:5], 0x58
	s_load_dwordx2 s[16:17], s[4:5], 0x48
	;; [unrolled: 1-line block ×3, first 2 shown]
	v_mov_b32_e32 v21, v18
	s_xor_b64 exec, exec, s[0:1]
	s_cbranch_execz .LBB2_13
; %bb.12:
	v_lshlrev_b64 v[1:2], 2, v[13:14]
	s_waitcnt lgkmcnt(0)
	v_mov_b32_e32 v5, s7
	v_add_co_u32_e32 v1, vcc, s6, v1
	v_addc_co_u32_e32 v2, vcc, v5, v2, vcc
	global_load_dword v1, v[1:2], off
	s_waitcnt vmcnt(0)
	v_subrev_u32_e32 v21, s9, v1
.LBB2_13:
	s_or_b64 exec, exec, s[0:1]
	v_subrev_co_u32_e32 v1, vcc, s8, v3
	v_subbrev_co_u32_e32 v2, vcc, 0, v4, vcc
	v_subrev_co_u32_e32 v3, vcc, s11, v7
	v_subbrev_co_u32_e32 v4, vcc, 0, v8, vcc
	s_waitcnt vmcnt(0)
	v_subrev_co_u32_e32 v5, vcc, s10, v11
	v_subbrev_co_u32_e32 v6, vcc, 0, v12, vcc
	v_and_b32_e32 v19, 31, v0
	v_add_co_u32_e32 v7, vcc, v9, v19
	v_mbcnt_lo_u32_b32 v11, -1, 0
	v_addc_co_u32_e32 v8, vcc, 0, v10, vcc
	v_mbcnt_hi_u32_b32 v11, -1, v11
	v_add_co_u32_e32 v9, vcc, v13, v19
	v_and_b32_e32 v12, 64, v11
	v_addc_co_u32_e32 v10, vcc, 0, v14, vcc
	v_add_u32_e32 v12, 64, v12
	v_xor_b32_e32 v13, 16, v11
	v_xor_b32_e32 v14, 8, v11
	v_cmp_lt_i32_e32 vcc, v13, v12
	v_xor_b32_e32 v20, 4, v11
	v_cndmask_b32_e32 v13, v11, v13, vcc
	v_cmp_lt_i32_e32 vcc, v14, v12
	v_xor_b32_e32 v22, 2, v11
	v_cndmask_b32_e32 v14, v11, v14, vcc
	;; [unrolled: 3-line block ×3, first 2 shown]
	v_cmp_lt_i32_e32 vcc, v22, v12
	v_and_b32_e32 v24, 0xe0, v0
	v_cndmask_b32_e32 v26, v11, v22, vcc
	v_cmp_lt_i32_e32 vcc, v23, v12
	v_cndmask_b32_e32 v12, v11, v23, vcc
	v_lshlrev_b32_e32 v20, 2, v24
	v_min_i32_e32 v11, v21, v15
	v_xor_b32_e32 v15, 31, v19
	v_or_b32_e32 v0, 0x400, v24
	v_lshrrev_b32_e64 v21, v15, -1
	v_lshlrev_b32_e32 v22, 2, v13
	v_lshlrev_b32_e32 v23, 2, v14
	;; [unrolled: 1-line block ×5, first 2 shown]
	s_mov_b64 s[4:5], 0
	v_mov_b32_e32 v27, 0
	v_lshl_or_b32 v28, v19, 2, v20
	v_mov_b32_e32 v29, 1
	s_branch .LBB2_15
.LBB2_14:                               ;   in Loop: Header=BB2_15 Depth=1
	s_or_b64 exec, exec, s[10:11]
	ds_bpermute_b32 v11, v22, v30
	s_bcnt1_i32_b64 s10, vcc
	v_add_co_u32_e32 v5, vcc, s10, v5
	v_addc_co_u32_e32 v6, vcc, 0, v6, vcc
	s_waitcnt lgkmcnt(0)
	v_min_i32_e32 v11, v11, v30
	ds_bpermute_b32 v12, v23, v11
	s_waitcnt lgkmcnt(0)
	v_min_i32_e32 v11, v12, v11
	ds_bpermute_b32 v12, v24, v11
	;; [unrolled: 3-line block ×4, first 2 shown]
	s_waitcnt lgkmcnt(0)
	v_min_i32_e32 v11, v12, v11
	v_ashrrev_i32_e32 v12, 31, v11
	v_cmp_le_i64_e64 s[0:1], s[14:15], v[11:12]
	s_or_b64 s[4:5], s[0:1], s[4:5]
	s_andn2_b64 exec, exec, s[4:5]
	s_cbranch_execz .LBB2_37
.LBB2_15:                               ; =>This Loop Header: Depth=1
                                        ;     Child Loop BB2_18 Depth 2
                                        ;     Child Loop BB2_28 Depth 2
	v_cmp_lt_i64_e32 vcc, v[7:8], v[1:2]
	v_add_u32_e32 v31, v0, v19
	v_mov_b32_e32 v30, v18
	ds_write_b8 v31, v27
	ds_write_b32 v28, v27
	s_waitcnt lgkmcnt(0)
	s_and_saveexec_b64 s[10:11], vcc
	s_cbranch_execz .LBB2_25
; %bb.16:                               ;   in Loop: Header=BB2_15 Depth=1
	v_lshlrev_b64 v[14:15], 2, v[7:8]
	v_mov_b32_e32 v13, s3
	v_add_co_u32_e32 v12, vcc, s2, v14
	v_addc_co_u32_e32 v13, vcc, v13, v15, vcc
	v_mov_b32_e32 v30, s19
	v_add_co_u32_e32 v14, vcc, s18, v14
	v_addc_co_u32_e32 v15, vcc, v30, v15, vcc
	s_mov_b64 s[20:21], 0
	v_mov_b32_e32 v30, v18
	s_branch .LBB2_18
.LBB2_17:                               ;   in Loop: Header=BB2_18 Depth=2
	s_or_b64 exec, exec, s[22:23]
	s_and_b64 s[0:1], exec, s[0:1]
	s_or_b64 s[20:21], s[0:1], s[20:21]
	s_andn2_b64 exec, exec, s[20:21]
	s_cbranch_execz .LBB2_24
.LBB2_18:                               ;   Parent Loop BB2_15 Depth=1
                                        ; =>  This Inner Loop Header: Depth=2
	global_load_dword v32, v[12:13], off
	s_waitcnt vmcnt(0)
	v_subrev_u32_e32 v33, s8, v32
	v_sub_u32_e32 v32, v33, v11
	v_cmp_gt_u32_e32 vcc, 32, v32
	v_cmp_lt_u32_e64 s[0:1], 31, v32
	s_and_saveexec_b64 s[22:23], s[0:1]
	s_xor_b64 s[0:1], exec, s[22:23]
	s_cbranch_execnz .LBB2_21
; %bb.19:                               ;   in Loop: Header=BB2_18 Depth=2
	s_andn2_saveexec_b64 s[0:1], s[0:1]
	s_cbranch_execnz .LBB2_22
.LBB2_20:                               ;   in Loop: Header=BB2_18 Depth=2
	s_or_b64 exec, exec, s[0:1]
	s_mov_b64 s[0:1], -1
	s_and_saveexec_b64 s[22:23], vcc
	s_cbranch_execz .LBB2_17
	s_branch .LBB2_23
.LBB2_21:                               ;   in Loop: Header=BB2_18 Depth=2
	v_min_i32_e32 v30, v33, v30
                                        ; implicit-def: $vgpr32
	s_andn2_saveexec_b64 s[0:1], s[0:1]
	s_cbranch_execz .LBB2_20
.LBB2_22:                               ;   in Loop: Header=BB2_18 Depth=2
	global_load_dword v33, v[14:15], off
	v_add_u32_e32 v34, v0, v32
	v_lshl_add_u32 v32, v32, 2, v20
	ds_write_b8 v34, v29
	s_waitcnt vmcnt(0)
	v_mul_f32_e32 v33, v16, v33
	ds_write_b32 v32, v33
	s_or_b64 exec, exec, s[0:1]
	s_mov_b64 s[0:1], -1
	s_and_saveexec_b64 s[22:23], vcc
	s_cbranch_execz .LBB2_17
.LBB2_23:                               ;   in Loop: Header=BB2_18 Depth=2
	v_add_co_u32_e32 v7, vcc, 32, v7
	v_addc_co_u32_e32 v8, vcc, 0, v8, vcc
	v_add_co_u32_e32 v12, vcc, 0x80, v12
	v_addc_co_u32_e32 v13, vcc, 0, v13, vcc
	v_cmp_ge_i64_e64 s[0:1], v[7:8], v[1:2]
	v_add_co_u32_e32 v14, vcc, 0x80, v14
	v_addc_co_u32_e32 v15, vcc, 0, v15, vcc
	s_orn2_b64 s[0:1], s[0:1], exec
	s_branch .LBB2_17
.LBB2_24:                               ;   in Loop: Header=BB2_15 Depth=1
	s_or_b64 exec, exec, s[20:21]
.LBB2_25:                               ;   in Loop: Header=BB2_15 Depth=1
	s_or_b64 exec, exec, s[10:11]
	v_cmp_lt_i64_e32 vcc, v[9:10], v[3:4]
	s_waitcnt lgkmcnt(0)
	s_and_saveexec_b64 s[10:11], vcc
	s_cbranch_execz .LBB2_35
; %bb.26:                               ;   in Loop: Header=BB2_15 Depth=1
	v_lshlrev_b64 v[14:15], 2, v[9:10]
	v_mov_b32_e32 v13, s7
	v_add_co_u32_e32 v12, vcc, s6, v14
	v_addc_co_u32_e32 v13, vcc, v13, v15, vcc
	v_mov_b32_e32 v32, s17
	v_add_co_u32_e32 v14, vcc, s16, v14
	v_addc_co_u32_e32 v15, vcc, v32, v15, vcc
	s_mov_b64 s[20:21], 0
	s_branch .LBB2_28
.LBB2_27:                               ;   in Loop: Header=BB2_28 Depth=2
	s_or_b64 exec, exec, s[22:23]
	s_and_b64 s[0:1], exec, s[0:1]
	s_or_b64 s[20:21], s[0:1], s[20:21]
	s_andn2_b64 exec, exec, s[20:21]
	s_cbranch_execz .LBB2_34
.LBB2_28:                               ;   Parent Loop BB2_15 Depth=1
                                        ; =>  This Inner Loop Header: Depth=2
	global_load_dword v32, v[12:13], off
	s_waitcnt vmcnt(0)
	v_subrev_u32_e32 v33, s9, v32
	v_sub_u32_e32 v32, v33, v11
	v_cmp_gt_u32_e32 vcc, 32, v32
	v_cmp_lt_u32_e64 s[0:1], 31, v32
	s_and_saveexec_b64 s[22:23], s[0:1]
	s_xor_b64 s[0:1], exec, s[22:23]
	s_cbranch_execnz .LBB2_31
; %bb.29:                               ;   in Loop: Header=BB2_28 Depth=2
	s_andn2_saveexec_b64 s[0:1], s[0:1]
	s_cbranch_execnz .LBB2_32
.LBB2_30:                               ;   in Loop: Header=BB2_28 Depth=2
	s_or_b64 exec, exec, s[0:1]
	s_mov_b64 s[0:1], -1
	s_and_saveexec_b64 s[22:23], vcc
	s_cbranch_execz .LBB2_27
	s_branch .LBB2_33
.LBB2_31:                               ;   in Loop: Header=BB2_28 Depth=2
	v_min_i32_e32 v30, v33, v30
                                        ; implicit-def: $vgpr32
	s_andn2_saveexec_b64 s[0:1], s[0:1]
	s_cbranch_execz .LBB2_30
.LBB2_32:                               ;   in Loop: Header=BB2_28 Depth=2
	global_load_dword v33, v[14:15], off
	v_lshl_add_u32 v34, v32, 2, v20
	ds_read_b32 v35, v34
	v_add_u32_e32 v32, v0, v32
	ds_write_b8 v32, v29
	s_waitcnt vmcnt(0) lgkmcnt(1)
	v_fmac_f32_e32 v35, v17, v33
	ds_write_b32 v34, v35
	s_or_b64 exec, exec, s[0:1]
	s_mov_b64 s[0:1], -1
	s_and_saveexec_b64 s[22:23], vcc
	s_cbranch_execz .LBB2_27
.LBB2_33:                               ;   in Loop: Header=BB2_28 Depth=2
	v_add_co_u32_e32 v9, vcc, 32, v9
	v_addc_co_u32_e32 v10, vcc, 0, v10, vcc
	v_add_co_u32_e32 v12, vcc, 0x80, v12
	v_addc_co_u32_e32 v13, vcc, 0, v13, vcc
	v_cmp_ge_i64_e64 s[0:1], v[9:10], v[3:4]
	v_add_co_u32_e32 v14, vcc, 0x80, v14
	v_addc_co_u32_e32 v15, vcc, 0, v15, vcc
	s_orn2_b64 s[0:1], s[0:1], exec
	s_branch .LBB2_27
.LBB2_34:                               ;   in Loop: Header=BB2_15 Depth=1
	s_or_b64 exec, exec, s[20:21]
.LBB2_35:                               ;   in Loop: Header=BB2_15 Depth=1
	s_or_b64 exec, exec, s[10:11]
	s_waitcnt lgkmcnt(0)
	ds_read_u8 v11, v31
	s_waitcnt lgkmcnt(0)
	v_and_b32_e32 v12, 1, v11
	v_cmp_eq_u32_e64 s[0:1], 1, v12
	v_cmp_ne_u16_e32 vcc, 0, v11
	s_and_saveexec_b64 s[10:11], s[0:1]
	s_cbranch_execz .LBB2_14
; %bb.36:                               ;   in Loop: Header=BB2_15 Depth=1
	v_lshlrev_b64 v[11:12], 2, v[5:6]
	v_mov_b32_e32 v13, s13
	v_add_co_u32_e64 v11, s[0:1], s12, v11
	v_addc_co_u32_e64 v12, s[0:1], v13, v12, s[0:1]
	v_and_b32_e32 v13, vcc_lo, v21
	ds_read_b32 v14, v28
	v_bcnt_u32_b32 v13, v13, 0
	v_lshlrev_b32_e32 v13, 2, v13
	v_add_co_u32_e64 v11, s[0:1], v11, v13
	v_addc_co_u32_e64 v12, s[0:1], 0, v12, s[0:1]
	s_waitcnt lgkmcnt(0)
	global_store_dword v[11:12], v14, off offset:-4
	s_branch .LBB2_14
.LBB2_37:
	s_endpgm
	.section	.rodata,"a",@progbits
	.p2align	6, 0x0
	.amdhsa_kernel _ZN9rocsparseL37csrgeam_fill_numeric_multipass_kernelILj256ELj32ElifEEvllNS_24const_host_device_scalarIT3_EEPKT1_PKT2_PKS2_S3_S6_S9_SB_S6_PS2_21rocsparse_index_base_SD_SD_bbb
		.amdhsa_group_segment_fixed_size 1280
		.amdhsa_private_segment_fixed_size 0
		.amdhsa_kernarg_size 112
		.amdhsa_user_sgpr_count 6
		.amdhsa_user_sgpr_private_segment_buffer 1
		.amdhsa_user_sgpr_dispatch_ptr 0
		.amdhsa_user_sgpr_queue_ptr 0
		.amdhsa_user_sgpr_kernarg_segment_ptr 1
		.amdhsa_user_sgpr_dispatch_id 0
		.amdhsa_user_sgpr_flat_scratch_init 0
		.amdhsa_user_sgpr_private_segment_size 0
		.amdhsa_uses_dynamic_stack 0
		.amdhsa_system_sgpr_private_segment_wavefront_offset 0
		.amdhsa_system_sgpr_workgroup_id_x 1
		.amdhsa_system_sgpr_workgroup_id_y 0
		.amdhsa_system_sgpr_workgroup_id_z 0
		.amdhsa_system_sgpr_workgroup_info 0
		.amdhsa_system_vgpr_workitem_id 0
		.amdhsa_next_free_vgpr 36
		.amdhsa_next_free_sgpr 24
		.amdhsa_reserve_vcc 1
		.amdhsa_reserve_flat_scratch 0
		.amdhsa_float_round_mode_32 0
		.amdhsa_float_round_mode_16_64 0
		.amdhsa_float_denorm_mode_32 3
		.amdhsa_float_denorm_mode_16_64 3
		.amdhsa_dx10_clamp 1
		.amdhsa_ieee_mode 1
		.amdhsa_fp16_overflow 0
		.amdhsa_exception_fp_ieee_invalid_op 0
		.amdhsa_exception_fp_denorm_src 0
		.amdhsa_exception_fp_ieee_div_zero 0
		.amdhsa_exception_fp_ieee_overflow 0
		.amdhsa_exception_fp_ieee_underflow 0
		.amdhsa_exception_fp_ieee_inexact 0
		.amdhsa_exception_int_div_zero 0
	.end_amdhsa_kernel
	.section	.text._ZN9rocsparseL37csrgeam_fill_numeric_multipass_kernelILj256ELj32ElifEEvllNS_24const_host_device_scalarIT3_EEPKT1_PKT2_PKS2_S3_S6_S9_SB_S6_PS2_21rocsparse_index_base_SD_SD_bbb,"axG",@progbits,_ZN9rocsparseL37csrgeam_fill_numeric_multipass_kernelILj256ELj32ElifEEvllNS_24const_host_device_scalarIT3_EEPKT1_PKT2_PKS2_S3_S6_S9_SB_S6_PS2_21rocsparse_index_base_SD_SD_bbb,comdat
.Lfunc_end2:
	.size	_ZN9rocsparseL37csrgeam_fill_numeric_multipass_kernelILj256ELj32ElifEEvllNS_24const_host_device_scalarIT3_EEPKT1_PKT2_PKS2_S3_S6_S9_SB_S6_PS2_21rocsparse_index_base_SD_SD_bbb, .Lfunc_end2-_ZN9rocsparseL37csrgeam_fill_numeric_multipass_kernelILj256ELj32ElifEEvllNS_24const_host_device_scalarIT3_EEPKT1_PKT2_PKS2_S3_S6_S9_SB_S6_PS2_21rocsparse_index_base_SD_SD_bbb
                                        ; -- End function
	.set _ZN9rocsparseL37csrgeam_fill_numeric_multipass_kernelILj256ELj32ElifEEvllNS_24const_host_device_scalarIT3_EEPKT1_PKT2_PKS2_S3_S6_S9_SB_S6_PS2_21rocsparse_index_base_SD_SD_bbb.num_vgpr, 36
	.set _ZN9rocsparseL37csrgeam_fill_numeric_multipass_kernelILj256ELj32ElifEEvllNS_24const_host_device_scalarIT3_EEPKT1_PKT2_PKS2_S3_S6_S9_SB_S6_PS2_21rocsparse_index_base_SD_SD_bbb.num_agpr, 0
	.set _ZN9rocsparseL37csrgeam_fill_numeric_multipass_kernelILj256ELj32ElifEEvllNS_24const_host_device_scalarIT3_EEPKT1_PKT2_PKS2_S3_S6_S9_SB_S6_PS2_21rocsparse_index_base_SD_SD_bbb.numbered_sgpr, 24
	.set _ZN9rocsparseL37csrgeam_fill_numeric_multipass_kernelILj256ELj32ElifEEvllNS_24const_host_device_scalarIT3_EEPKT1_PKT2_PKS2_S3_S6_S9_SB_S6_PS2_21rocsparse_index_base_SD_SD_bbb.num_named_barrier, 0
	.set _ZN9rocsparseL37csrgeam_fill_numeric_multipass_kernelILj256ELj32ElifEEvllNS_24const_host_device_scalarIT3_EEPKT1_PKT2_PKS2_S3_S6_S9_SB_S6_PS2_21rocsparse_index_base_SD_SD_bbb.private_seg_size, 0
	.set _ZN9rocsparseL37csrgeam_fill_numeric_multipass_kernelILj256ELj32ElifEEvllNS_24const_host_device_scalarIT3_EEPKT1_PKT2_PKS2_S3_S6_S9_SB_S6_PS2_21rocsparse_index_base_SD_SD_bbb.uses_vcc, 1
	.set _ZN9rocsparseL37csrgeam_fill_numeric_multipass_kernelILj256ELj32ElifEEvllNS_24const_host_device_scalarIT3_EEPKT1_PKT2_PKS2_S3_S6_S9_SB_S6_PS2_21rocsparse_index_base_SD_SD_bbb.uses_flat_scratch, 0
	.set _ZN9rocsparseL37csrgeam_fill_numeric_multipass_kernelILj256ELj32ElifEEvllNS_24const_host_device_scalarIT3_EEPKT1_PKT2_PKS2_S3_S6_S9_SB_S6_PS2_21rocsparse_index_base_SD_SD_bbb.has_dyn_sized_stack, 0
	.set _ZN9rocsparseL37csrgeam_fill_numeric_multipass_kernelILj256ELj32ElifEEvllNS_24const_host_device_scalarIT3_EEPKT1_PKT2_PKS2_S3_S6_S9_SB_S6_PS2_21rocsparse_index_base_SD_SD_bbb.has_recursion, 0
	.set _ZN9rocsparseL37csrgeam_fill_numeric_multipass_kernelILj256ELj32ElifEEvllNS_24const_host_device_scalarIT3_EEPKT1_PKT2_PKS2_S3_S6_S9_SB_S6_PS2_21rocsparse_index_base_SD_SD_bbb.has_indirect_call, 0
	.section	.AMDGPU.csdata,"",@progbits
; Kernel info:
; codeLenInByte = 1520
; TotalNumSgprs: 28
; NumVgprs: 36
; ScratchSize: 0
; MemoryBound: 0
; FloatMode: 240
; IeeeMode: 1
; LDSByteSize: 1280 bytes/workgroup (compile time only)
; SGPRBlocks: 3
; VGPRBlocks: 8
; NumSGPRsForWavesPerEU: 28
; NumVGPRsForWavesPerEU: 36
; Occupancy: 7
; WaveLimiterHint : 1
; COMPUTE_PGM_RSRC2:SCRATCH_EN: 0
; COMPUTE_PGM_RSRC2:USER_SGPR: 6
; COMPUTE_PGM_RSRC2:TRAP_HANDLER: 0
; COMPUTE_PGM_RSRC2:TGID_X_EN: 1
; COMPUTE_PGM_RSRC2:TGID_Y_EN: 0
; COMPUTE_PGM_RSRC2:TGID_Z_EN: 0
; COMPUTE_PGM_RSRC2:TIDIG_COMP_CNT: 0
	.section	.text._ZN9rocsparseL37csrgeam_fill_numeric_multipass_kernelILj256ELj64ElifEEvllNS_24const_host_device_scalarIT3_EEPKT1_PKT2_PKS2_S3_S6_S9_SB_S6_PS2_21rocsparse_index_base_SD_SD_bbb,"axG",@progbits,_ZN9rocsparseL37csrgeam_fill_numeric_multipass_kernelILj256ELj64ElifEEvllNS_24const_host_device_scalarIT3_EEPKT1_PKT2_PKS2_S3_S6_S9_SB_S6_PS2_21rocsparse_index_base_SD_SD_bbb,comdat
	.globl	_ZN9rocsparseL37csrgeam_fill_numeric_multipass_kernelILj256ELj64ElifEEvllNS_24const_host_device_scalarIT3_EEPKT1_PKT2_PKS2_S3_S6_S9_SB_S6_PS2_21rocsparse_index_base_SD_SD_bbb ; -- Begin function _ZN9rocsparseL37csrgeam_fill_numeric_multipass_kernelILj256ELj64ElifEEvllNS_24const_host_device_scalarIT3_EEPKT1_PKT2_PKS2_S3_S6_S9_SB_S6_PS2_21rocsparse_index_base_SD_SD_bbb
	.p2align	8
	.type	_ZN9rocsparseL37csrgeam_fill_numeric_multipass_kernelILj256ELj64ElifEEvllNS_24const_host_device_scalarIT3_EEPKT1_PKT2_PKS2_S3_S6_S9_SB_S6_PS2_21rocsparse_index_base_SD_SD_bbb,@function
_ZN9rocsparseL37csrgeam_fill_numeric_multipass_kernelILj256ELj64ElifEEvllNS_24const_host_device_scalarIT3_EEPKT1_PKT2_PKS2_S3_S6_S9_SB_S6_PS2_21rocsparse_index_base_SD_SD_bbb: ; @_ZN9rocsparseL37csrgeam_fill_numeric_multipass_kernelILj256ELj64ElifEEvllNS_24const_host_device_scalarIT3_EEPKT1_PKT2_PKS2_S3_S6_S9_SB_S6_PS2_21rocsparse_index_base_SD_SD_bbb
; %bb.0:
	s_load_dwordx4 s[8:11], s[4:5], 0x60
	s_load_dwordx2 s[2:3], s[4:5], 0x30
	s_load_dword s7, s[4:5], 0x6c
	s_load_dwordx4 s[12:15], s[4:5], 0x0
	s_load_dwordx2 s[18:19], s[4:5], 0x10
	s_waitcnt lgkmcnt(0)
	s_bitcmp1_b32 s11, 0
	s_cselect_b64 s[0:1], -1, 0
	s_bitcmp1_b32 s7, 16
	s_cselect_b64 s[16:17], -1, 0
	s_xor_b64 s[20:21], s[0:1], -1
	s_or_b64 s[20:21], s[16:17], s[20:21]
	s_and_b64 vcc, exec, s[20:21]
	s_cbranch_vccnz .LBB3_2
; %bb.1:
	s_load_dword s0, s[18:19], 0x0
	s_waitcnt lgkmcnt(0)
	v_mov_b32_e32 v18, s0
	s_branch .LBB3_3
.LBB3_2:
	v_mov_b32_e32 v1, s18
	v_cndmask_b32_e64 v18, 0, v1, s[0:1]
.LBB3_3:
	s_bitcmp1_b32 s7, 8
	s_cselect_b64 s[0:1], -1, 0
	s_xor_b64 s[18:19], s[0:1], -1
	s_or_b64 s[16:17], s[16:17], s[18:19]
	s_and_b64 vcc, exec, s[16:17]
	s_cbranch_vccnz .LBB3_5
; %bb.4:
	s_load_dword s0, s[2:3], 0x0
	s_waitcnt lgkmcnt(0)
	v_mov_b32_e32 v19, s0
	s_branch .LBB3_6
.LBB3_5:
	v_mov_b32_e32 v1, s2
	v_cndmask_b32_e64 v19, 0, v1, s[0:1]
.LBB3_6:
	s_lshl_b32 s0, s6, 2
	v_lshrrev_b32_e32 v1, 6, v0
	s_and_b32 s0, s0, 0x3fffffc
	v_or_b32_e32 v1, s0, v1
	v_mov_b32_e32 v2, 0
	v_cmp_gt_i64_e32 vcc, s[12:13], v[1:2]
	s_and_saveexec_b64 s[0:1], vcc
	s_cbranch_execz .LBB3_37
; %bb.7:
	s_load_dwordx4 s[0:3], s[4:5], 0x18
	s_load_dwordx2 s[6:7], s[4:5], 0x50
	s_load_dwordx2 s[12:13], s[4:5], 0x38
	v_lshlrev_b32_e32 v9, 3, v1
	s_waitcnt lgkmcnt(0)
	global_load_dwordx4 v[1:4], v9, s[0:1]
	global_load_dwordx4 v[5:8], v9, s[12:13]
	global_load_dwordx2 v[11:12], v9, s[6:7]
	s_waitcnt vmcnt(2)
	v_cmp_ge_i64_e32 vcc, v[1:2], v[3:4]
	v_subrev_co_u32_e64 v9, s[0:1], s8, v1
	v_subbrev_co_u32_e64 v10, s[0:1], 0, v2, s[0:1]
	s_and_saveexec_b64 s[0:1], vcc
	s_xor_b64 s[0:1], exec, s[0:1]
	s_or_saveexec_b64 s[0:1], s[0:1]
	v_mov_b32_e32 v15, s14
	s_xor_b64 exec, exec, s[0:1]
	s_cbranch_execz .LBB3_9
; %bb.8:
	v_lshlrev_b64 v[1:2], 2, v[9:10]
	v_mov_b32_e32 v13, s3
	v_add_co_u32_e32 v1, vcc, s2, v1
	v_addc_co_u32_e32 v2, vcc, v13, v2, vcc
	global_load_dword v1, v[1:2], off
	s_waitcnt vmcnt(0)
	v_subrev_u32_e32 v15, s8, v1
.LBB3_9:
	s_or_b64 exec, exec, s[0:1]
	s_load_dwordx2 s[6:7], s[4:5], 0x40
	s_waitcnt vmcnt(1)
	v_subrev_co_u32_e32 v13, vcc, s9, v5
	v_subbrev_co_u32_e32 v14, vcc, 0, v6, vcc
	v_cmp_ge_i64_e32 vcc, v[5:6], v[7:8]
	s_mov_b32 s11, s9
	v_mov_b32_e32 v20, s14
	s_and_saveexec_b64 s[0:1], vcc
	s_xor_b64 s[0:1], exec, s[0:1]
; %bb.10:
	v_mov_b32_e32 v20, s14
; %bb.11:
	s_or_saveexec_b64 s[0:1], s[0:1]
	s_load_dwordx2 s[12:13], s[4:5], 0x58
	s_load_dwordx2 s[16:17], s[4:5], 0x48
	s_load_dwordx2 s[18:19], s[4:5], 0x28
	v_mov_b32_e32 v16, v20
	s_xor_b64 exec, exec, s[0:1]
	s_cbranch_execz .LBB3_13
; %bb.12:
	v_lshlrev_b64 v[1:2], 2, v[13:14]
	s_waitcnt lgkmcnt(0)
	v_mov_b32_e32 v5, s7
	v_add_co_u32_e32 v1, vcc, s6, v1
	v_addc_co_u32_e32 v2, vcc, v5, v2, vcc
	global_load_dword v1, v[1:2], off
	s_waitcnt vmcnt(0)
	v_subrev_u32_e32 v16, s9, v1
.LBB3_13:
	s_or_b64 exec, exec, s[0:1]
	v_subrev_co_u32_e32 v1, vcc, s8, v3
	v_subbrev_co_u32_e32 v2, vcc, 0, v4, vcc
	v_subrev_co_u32_e32 v3, vcc, s11, v7
	v_subbrev_co_u32_e32 v4, vcc, 0, v8, vcc
	s_waitcnt vmcnt(0)
	v_subrev_co_u32_e32 v5, vcc, s10, v11
	v_subbrev_co_u32_e32 v6, vcc, 0, v12, vcc
	v_and_b32_e32 v21, 63, v0
	v_add_co_u32_e32 v7, vcc, v9, v21
	v_mbcnt_lo_u32_b32 v11, -1, 0
	v_addc_co_u32_e32 v8, vcc, 0, v10, vcc
	v_mbcnt_hi_u32_b32 v11, -1, v11
	v_add_co_u32_e32 v9, vcc, v13, v21
	v_and_b32_e32 v12, 64, v11
	v_addc_co_u32_e32 v10, vcc, 0, v14, vcc
	v_add_u32_e32 v12, 64, v12
	v_xor_b32_e32 v24, 32, v11
	v_xor_b32_e32 v13, 16, v11
	v_cmp_lt_i32_e32 vcc, v24, v12
	v_xor_b32_e32 v14, 8, v11
	v_cndmask_b32_e32 v24, v11, v24, vcc
	v_cmp_lt_i32_e32 vcc, v13, v12
	v_xor_b32_e32 v17, 4, v11
	v_cndmask_b32_e32 v25, v11, v13, vcc
	;; [unrolled: 3-line block ×4, first 2 shown]
	v_cmp_lt_i32_e32 vcc, v22, v12
	v_cndmask_b32_e32 v27, v11, v22, vcc
	v_cmp_lt_i32_e32 vcc, v23, v12
	v_cndmask_b32_e32 v11, v11, v23, vcc
	v_and_b32_e32 v12, 0xc0, v0
	v_lshlrev_b32_e32 v28, 2, v11
	v_xor_b32_e32 v11, 63, v21
	v_or_b32_e32 v0, 0x400, v12
	v_lshlrev_b32_e32 v22, 2, v12
	v_lshrrev_b64 v[11:12], v11, -1
	v_min_i32_e32 v13, v16, v15
	v_lshlrev_b32_e32 v23, 2, v24
	v_lshlrev_b32_e32 v24, 2, v25
	;; [unrolled: 1-line block ×5, first 2 shown]
	s_mov_b64 s[4:5], 0
	v_mov_b32_e32 v29, 0
	v_lshl_or_b32 v30, v21, 2, v22
	v_mov_b32_e32 v31, 1
	s_branch .LBB3_15
.LBB3_14:                               ;   in Loop: Header=BB3_15 Depth=1
	s_or_b64 exec, exec, s[10:11]
	ds_bpermute_b32 v13, v23, v32
	s_bcnt1_i32_b64 s10, vcc
	v_add_co_u32_e32 v5, vcc, s10, v5
	v_addc_co_u32_e32 v6, vcc, 0, v6, vcc
	s_waitcnt lgkmcnt(0)
	v_min_i32_e32 v13, v13, v32
	ds_bpermute_b32 v14, v24, v13
	s_waitcnt lgkmcnt(0)
	v_min_i32_e32 v13, v14, v13
	ds_bpermute_b32 v14, v25, v13
	;; [unrolled: 3-line block ×5, first 2 shown]
	s_waitcnt lgkmcnt(0)
	v_min_i32_e32 v13, v14, v13
	v_ashrrev_i32_e32 v14, 31, v13
	v_cmp_le_i64_e64 s[0:1], s[14:15], v[13:14]
	s_or_b64 s[4:5], s[0:1], s[4:5]
	s_andn2_b64 exec, exec, s[4:5]
	s_cbranch_execz .LBB3_37
.LBB3_15:                               ; =>This Loop Header: Depth=1
                                        ;     Child Loop BB3_18 Depth 2
                                        ;     Child Loop BB3_28 Depth 2
	v_cmp_lt_i64_e32 vcc, v[7:8], v[1:2]
	v_add_u32_e32 v33, v0, v21
	v_mov_b32_e32 v32, v20
	ds_write_b8 v33, v29
	ds_write_b32 v30, v29
	s_waitcnt lgkmcnt(0)
	s_and_saveexec_b64 s[10:11], vcc
	s_cbranch_execz .LBB3_25
; %bb.16:                               ;   in Loop: Header=BB3_15 Depth=1
	v_lshlrev_b64 v[16:17], 2, v[7:8]
	v_mov_b32_e32 v15, s3
	v_add_co_u32_e32 v14, vcc, s2, v16
	v_addc_co_u32_e32 v15, vcc, v15, v17, vcc
	v_mov_b32_e32 v32, s19
	v_add_co_u32_e32 v16, vcc, s18, v16
	v_addc_co_u32_e32 v17, vcc, v32, v17, vcc
	s_mov_b64 s[20:21], 0
	v_mov_b32_e32 v32, v20
	s_branch .LBB3_18
.LBB3_17:                               ;   in Loop: Header=BB3_18 Depth=2
	s_or_b64 exec, exec, s[22:23]
	s_and_b64 s[0:1], exec, s[0:1]
	s_or_b64 s[20:21], s[0:1], s[20:21]
	s_andn2_b64 exec, exec, s[20:21]
	s_cbranch_execz .LBB3_24
.LBB3_18:                               ;   Parent Loop BB3_15 Depth=1
                                        ; =>  This Inner Loop Header: Depth=2
	global_load_dword v34, v[14:15], off
	s_waitcnt vmcnt(0)
	v_subrev_u32_e32 v35, s8, v34
	v_sub_u32_e32 v34, v35, v13
	v_cmp_gt_u32_e32 vcc, 64, v34
	v_cmp_lt_u32_e64 s[0:1], 63, v34
	s_and_saveexec_b64 s[22:23], s[0:1]
	s_xor_b64 s[0:1], exec, s[22:23]
	s_cbranch_execnz .LBB3_21
; %bb.19:                               ;   in Loop: Header=BB3_18 Depth=2
	s_andn2_saveexec_b64 s[0:1], s[0:1]
	s_cbranch_execnz .LBB3_22
.LBB3_20:                               ;   in Loop: Header=BB3_18 Depth=2
	s_or_b64 exec, exec, s[0:1]
	s_mov_b64 s[0:1], -1
	s_and_saveexec_b64 s[22:23], vcc
	s_cbranch_execz .LBB3_17
	s_branch .LBB3_23
.LBB3_21:                               ;   in Loop: Header=BB3_18 Depth=2
	v_min_i32_e32 v32, v35, v32
                                        ; implicit-def: $vgpr34
	s_andn2_saveexec_b64 s[0:1], s[0:1]
	s_cbranch_execz .LBB3_20
.LBB3_22:                               ;   in Loop: Header=BB3_18 Depth=2
	global_load_dword v35, v[16:17], off
	v_add_u32_e32 v36, v0, v34
	v_lshl_add_u32 v34, v34, 2, v22
	ds_write_b8 v36, v31
	s_waitcnt vmcnt(0)
	v_mul_f32_e32 v35, v18, v35
	ds_write_b32 v34, v35
	s_or_b64 exec, exec, s[0:1]
	s_mov_b64 s[0:1], -1
	s_and_saveexec_b64 s[22:23], vcc
	s_cbranch_execz .LBB3_17
.LBB3_23:                               ;   in Loop: Header=BB3_18 Depth=2
	v_add_co_u32_e32 v7, vcc, 64, v7
	v_addc_co_u32_e32 v8, vcc, 0, v8, vcc
	v_add_co_u32_e32 v14, vcc, 0x100, v14
	v_addc_co_u32_e32 v15, vcc, 0, v15, vcc
	v_cmp_ge_i64_e64 s[0:1], v[7:8], v[1:2]
	v_add_co_u32_e32 v16, vcc, 0x100, v16
	v_addc_co_u32_e32 v17, vcc, 0, v17, vcc
	s_orn2_b64 s[0:1], s[0:1], exec
	s_branch .LBB3_17
.LBB3_24:                               ;   in Loop: Header=BB3_15 Depth=1
	s_or_b64 exec, exec, s[20:21]
.LBB3_25:                               ;   in Loop: Header=BB3_15 Depth=1
	s_or_b64 exec, exec, s[10:11]
	v_cmp_lt_i64_e32 vcc, v[9:10], v[3:4]
	s_waitcnt lgkmcnt(0)
	s_and_saveexec_b64 s[10:11], vcc
	s_cbranch_execz .LBB3_35
; %bb.26:                               ;   in Loop: Header=BB3_15 Depth=1
	v_lshlrev_b64 v[16:17], 2, v[9:10]
	v_mov_b32_e32 v15, s7
	v_add_co_u32_e32 v14, vcc, s6, v16
	v_addc_co_u32_e32 v15, vcc, v15, v17, vcc
	v_mov_b32_e32 v34, s17
	v_add_co_u32_e32 v16, vcc, s16, v16
	v_addc_co_u32_e32 v17, vcc, v34, v17, vcc
	s_mov_b64 s[20:21], 0
	s_branch .LBB3_28
.LBB3_27:                               ;   in Loop: Header=BB3_28 Depth=2
	s_or_b64 exec, exec, s[22:23]
	s_and_b64 s[0:1], exec, s[0:1]
	s_or_b64 s[20:21], s[0:1], s[20:21]
	s_andn2_b64 exec, exec, s[20:21]
	s_cbranch_execz .LBB3_34
.LBB3_28:                               ;   Parent Loop BB3_15 Depth=1
                                        ; =>  This Inner Loop Header: Depth=2
	global_load_dword v34, v[14:15], off
	s_waitcnt vmcnt(0)
	v_subrev_u32_e32 v35, s9, v34
	v_sub_u32_e32 v34, v35, v13
	v_cmp_gt_u32_e32 vcc, 64, v34
	v_cmp_lt_u32_e64 s[0:1], 63, v34
	s_and_saveexec_b64 s[22:23], s[0:1]
	s_xor_b64 s[0:1], exec, s[22:23]
	s_cbranch_execnz .LBB3_31
; %bb.29:                               ;   in Loop: Header=BB3_28 Depth=2
	s_andn2_saveexec_b64 s[0:1], s[0:1]
	s_cbranch_execnz .LBB3_32
.LBB3_30:                               ;   in Loop: Header=BB3_28 Depth=2
	s_or_b64 exec, exec, s[0:1]
	s_mov_b64 s[0:1], -1
	s_and_saveexec_b64 s[22:23], vcc
	s_cbranch_execz .LBB3_27
	s_branch .LBB3_33
.LBB3_31:                               ;   in Loop: Header=BB3_28 Depth=2
	v_min_i32_e32 v32, v35, v32
                                        ; implicit-def: $vgpr34
	s_andn2_saveexec_b64 s[0:1], s[0:1]
	s_cbranch_execz .LBB3_30
.LBB3_32:                               ;   in Loop: Header=BB3_28 Depth=2
	global_load_dword v35, v[16:17], off
	v_lshl_add_u32 v36, v34, 2, v22
	ds_read_b32 v37, v36
	v_add_u32_e32 v34, v0, v34
	ds_write_b8 v34, v31
	s_waitcnt vmcnt(0) lgkmcnt(1)
	v_fmac_f32_e32 v37, v19, v35
	ds_write_b32 v36, v37
	s_or_b64 exec, exec, s[0:1]
	s_mov_b64 s[0:1], -1
	s_and_saveexec_b64 s[22:23], vcc
	s_cbranch_execz .LBB3_27
.LBB3_33:                               ;   in Loop: Header=BB3_28 Depth=2
	v_add_co_u32_e32 v9, vcc, 64, v9
	v_addc_co_u32_e32 v10, vcc, 0, v10, vcc
	v_add_co_u32_e32 v14, vcc, 0x100, v14
	v_addc_co_u32_e32 v15, vcc, 0, v15, vcc
	v_cmp_ge_i64_e64 s[0:1], v[9:10], v[3:4]
	v_add_co_u32_e32 v16, vcc, 0x100, v16
	v_addc_co_u32_e32 v17, vcc, 0, v17, vcc
	s_orn2_b64 s[0:1], s[0:1], exec
	s_branch .LBB3_27
.LBB3_34:                               ;   in Loop: Header=BB3_15 Depth=1
	s_or_b64 exec, exec, s[20:21]
.LBB3_35:                               ;   in Loop: Header=BB3_15 Depth=1
	s_or_b64 exec, exec, s[10:11]
	s_waitcnt lgkmcnt(0)
	ds_read_u8 v13, v33
	s_waitcnt lgkmcnt(0)
	v_and_b32_e32 v14, 1, v13
	v_cmp_eq_u32_e64 s[0:1], 1, v14
	v_cmp_ne_u16_e32 vcc, 0, v13
	s_and_saveexec_b64 s[10:11], s[0:1]
	s_cbranch_execz .LBB3_14
; %bb.36:                               ;   in Loop: Header=BB3_15 Depth=1
	v_lshlrev_b64 v[13:14], 2, v[5:6]
	v_mov_b32_e32 v15, s13
	v_add_co_u32_e64 v13, s[0:1], s12, v13
	v_and_b32_e32 v16, vcc_lo, v11
	v_addc_co_u32_e64 v14, s[0:1], v15, v14, s[0:1]
	v_and_b32_e32 v15, vcc_hi, v12
	v_bcnt_u32_b32 v16, v16, 0
	v_bcnt_u32_b32 v15, v15, v16
	ds_read_b32 v16, v30
	v_lshlrev_b32_e32 v15, 2, v15
	v_add_co_u32_e64 v13, s[0:1], v13, v15
	v_addc_co_u32_e64 v14, s[0:1], 0, v14, s[0:1]
	s_waitcnt lgkmcnt(0)
	global_store_dword v[13:14], v16, off offset:-4
	s_branch .LBB3_14
.LBB3_37:
	s_endpgm
	.section	.rodata,"a",@progbits
	.p2align	6, 0x0
	.amdhsa_kernel _ZN9rocsparseL37csrgeam_fill_numeric_multipass_kernelILj256ELj64ElifEEvllNS_24const_host_device_scalarIT3_EEPKT1_PKT2_PKS2_S3_S6_S9_SB_S6_PS2_21rocsparse_index_base_SD_SD_bbb
		.amdhsa_group_segment_fixed_size 1280
		.amdhsa_private_segment_fixed_size 0
		.amdhsa_kernarg_size 112
		.amdhsa_user_sgpr_count 6
		.amdhsa_user_sgpr_private_segment_buffer 1
		.amdhsa_user_sgpr_dispatch_ptr 0
		.amdhsa_user_sgpr_queue_ptr 0
		.amdhsa_user_sgpr_kernarg_segment_ptr 1
		.amdhsa_user_sgpr_dispatch_id 0
		.amdhsa_user_sgpr_flat_scratch_init 0
		.amdhsa_user_sgpr_private_segment_size 0
		.amdhsa_uses_dynamic_stack 0
		.amdhsa_system_sgpr_private_segment_wavefront_offset 0
		.amdhsa_system_sgpr_workgroup_id_x 1
		.amdhsa_system_sgpr_workgroup_id_y 0
		.amdhsa_system_sgpr_workgroup_id_z 0
		.amdhsa_system_sgpr_workgroup_info 0
		.amdhsa_system_vgpr_workitem_id 0
		.amdhsa_next_free_vgpr 38
		.amdhsa_next_free_sgpr 24
		.amdhsa_reserve_vcc 1
		.amdhsa_reserve_flat_scratch 0
		.amdhsa_float_round_mode_32 0
		.amdhsa_float_round_mode_16_64 0
		.amdhsa_float_denorm_mode_32 3
		.amdhsa_float_denorm_mode_16_64 3
		.amdhsa_dx10_clamp 1
		.amdhsa_ieee_mode 1
		.amdhsa_fp16_overflow 0
		.amdhsa_exception_fp_ieee_invalid_op 0
		.amdhsa_exception_fp_denorm_src 0
		.amdhsa_exception_fp_ieee_div_zero 0
		.amdhsa_exception_fp_ieee_overflow 0
		.amdhsa_exception_fp_ieee_underflow 0
		.amdhsa_exception_fp_ieee_inexact 0
		.amdhsa_exception_int_div_zero 0
	.end_amdhsa_kernel
	.section	.text._ZN9rocsparseL37csrgeam_fill_numeric_multipass_kernelILj256ELj64ElifEEvllNS_24const_host_device_scalarIT3_EEPKT1_PKT2_PKS2_S3_S6_S9_SB_S6_PS2_21rocsparse_index_base_SD_SD_bbb,"axG",@progbits,_ZN9rocsparseL37csrgeam_fill_numeric_multipass_kernelILj256ELj64ElifEEvllNS_24const_host_device_scalarIT3_EEPKT1_PKT2_PKS2_S3_S6_S9_SB_S6_PS2_21rocsparse_index_base_SD_SD_bbb,comdat
.Lfunc_end3:
	.size	_ZN9rocsparseL37csrgeam_fill_numeric_multipass_kernelILj256ELj64ElifEEvllNS_24const_host_device_scalarIT3_EEPKT1_PKT2_PKS2_S3_S6_S9_SB_S6_PS2_21rocsparse_index_base_SD_SD_bbb, .Lfunc_end3-_ZN9rocsparseL37csrgeam_fill_numeric_multipass_kernelILj256ELj64ElifEEvllNS_24const_host_device_scalarIT3_EEPKT1_PKT2_PKS2_S3_S6_S9_SB_S6_PS2_21rocsparse_index_base_SD_SD_bbb
                                        ; -- End function
	.set _ZN9rocsparseL37csrgeam_fill_numeric_multipass_kernelILj256ELj64ElifEEvllNS_24const_host_device_scalarIT3_EEPKT1_PKT2_PKS2_S3_S6_S9_SB_S6_PS2_21rocsparse_index_base_SD_SD_bbb.num_vgpr, 38
	.set _ZN9rocsparseL37csrgeam_fill_numeric_multipass_kernelILj256ELj64ElifEEvllNS_24const_host_device_scalarIT3_EEPKT1_PKT2_PKS2_S3_S6_S9_SB_S6_PS2_21rocsparse_index_base_SD_SD_bbb.num_agpr, 0
	.set _ZN9rocsparseL37csrgeam_fill_numeric_multipass_kernelILj256ELj64ElifEEvllNS_24const_host_device_scalarIT3_EEPKT1_PKT2_PKS2_S3_S6_S9_SB_S6_PS2_21rocsparse_index_base_SD_SD_bbb.numbered_sgpr, 24
	.set _ZN9rocsparseL37csrgeam_fill_numeric_multipass_kernelILj256ELj64ElifEEvllNS_24const_host_device_scalarIT3_EEPKT1_PKT2_PKS2_S3_S6_S9_SB_S6_PS2_21rocsparse_index_base_SD_SD_bbb.num_named_barrier, 0
	.set _ZN9rocsparseL37csrgeam_fill_numeric_multipass_kernelILj256ELj64ElifEEvllNS_24const_host_device_scalarIT3_EEPKT1_PKT2_PKS2_S3_S6_S9_SB_S6_PS2_21rocsparse_index_base_SD_SD_bbb.private_seg_size, 0
	.set _ZN9rocsparseL37csrgeam_fill_numeric_multipass_kernelILj256ELj64ElifEEvllNS_24const_host_device_scalarIT3_EEPKT1_PKT2_PKS2_S3_S6_S9_SB_S6_PS2_21rocsparse_index_base_SD_SD_bbb.uses_vcc, 1
	.set _ZN9rocsparseL37csrgeam_fill_numeric_multipass_kernelILj256ELj64ElifEEvllNS_24const_host_device_scalarIT3_EEPKT1_PKT2_PKS2_S3_S6_S9_SB_S6_PS2_21rocsparse_index_base_SD_SD_bbb.uses_flat_scratch, 0
	.set _ZN9rocsparseL37csrgeam_fill_numeric_multipass_kernelILj256ELj64ElifEEvllNS_24const_host_device_scalarIT3_EEPKT1_PKT2_PKS2_S3_S6_S9_SB_S6_PS2_21rocsparse_index_base_SD_SD_bbb.has_dyn_sized_stack, 0
	.set _ZN9rocsparseL37csrgeam_fill_numeric_multipass_kernelILj256ELj64ElifEEvllNS_24const_host_device_scalarIT3_EEPKT1_PKT2_PKS2_S3_S6_S9_SB_S6_PS2_21rocsparse_index_base_SD_SD_bbb.has_recursion, 0
	.set _ZN9rocsparseL37csrgeam_fill_numeric_multipass_kernelILj256ELj64ElifEEvllNS_24const_host_device_scalarIT3_EEPKT1_PKT2_PKS2_S3_S6_S9_SB_S6_PS2_21rocsparse_index_base_SD_SD_bbb.has_indirect_call, 0
	.section	.AMDGPU.csdata,"",@progbits
; Kernel info:
; codeLenInByte = 1564
; TotalNumSgprs: 28
; NumVgprs: 38
; ScratchSize: 0
; MemoryBound: 0
; FloatMode: 240
; IeeeMode: 1
; LDSByteSize: 1280 bytes/workgroup (compile time only)
; SGPRBlocks: 3
; VGPRBlocks: 9
; NumSGPRsForWavesPerEU: 28
; NumVGPRsForWavesPerEU: 38
; Occupancy: 6
; WaveLimiterHint : 1
; COMPUTE_PGM_RSRC2:SCRATCH_EN: 0
; COMPUTE_PGM_RSRC2:USER_SGPR: 6
; COMPUTE_PGM_RSRC2:TRAP_HANDLER: 0
; COMPUTE_PGM_RSRC2:TGID_X_EN: 1
; COMPUTE_PGM_RSRC2:TGID_Y_EN: 0
; COMPUTE_PGM_RSRC2:TGID_Z_EN: 0
; COMPUTE_PGM_RSRC2:TIDIG_COMP_CNT: 0
	.section	.text._ZN9rocsparseL37csrgeam_fill_numeric_multipass_kernelILj256ELj32EllfEEvllNS_24const_host_device_scalarIT3_EEPKT1_PKT2_PKS2_S3_S6_S9_SB_S6_PS2_21rocsparse_index_base_SD_SD_bbb,"axG",@progbits,_ZN9rocsparseL37csrgeam_fill_numeric_multipass_kernelILj256ELj32EllfEEvllNS_24const_host_device_scalarIT3_EEPKT1_PKT2_PKS2_S3_S6_S9_SB_S6_PS2_21rocsparse_index_base_SD_SD_bbb,comdat
	.globl	_ZN9rocsparseL37csrgeam_fill_numeric_multipass_kernelILj256ELj32EllfEEvllNS_24const_host_device_scalarIT3_EEPKT1_PKT2_PKS2_S3_S6_S9_SB_S6_PS2_21rocsparse_index_base_SD_SD_bbb ; -- Begin function _ZN9rocsparseL37csrgeam_fill_numeric_multipass_kernelILj256ELj32EllfEEvllNS_24const_host_device_scalarIT3_EEPKT1_PKT2_PKS2_S3_S6_S9_SB_S6_PS2_21rocsparse_index_base_SD_SD_bbb
	.p2align	8
	.type	_ZN9rocsparseL37csrgeam_fill_numeric_multipass_kernelILj256ELj32EllfEEvllNS_24const_host_device_scalarIT3_EEPKT1_PKT2_PKS2_S3_S6_S9_SB_S6_PS2_21rocsparse_index_base_SD_SD_bbb,@function
_ZN9rocsparseL37csrgeam_fill_numeric_multipass_kernelILj256ELj32EllfEEvllNS_24const_host_device_scalarIT3_EEPKT1_PKT2_PKS2_S3_S6_S9_SB_S6_PS2_21rocsparse_index_base_SD_SD_bbb: ; @_ZN9rocsparseL37csrgeam_fill_numeric_multipass_kernelILj256ELj32EllfEEvllNS_24const_host_device_scalarIT3_EEPKT1_PKT2_PKS2_S3_S6_S9_SB_S6_PS2_21rocsparse_index_base_SD_SD_bbb
; %bb.0:
	s_load_dwordx4 s[8:11], s[4:5], 0x60
	s_load_dwordx2 s[2:3], s[4:5], 0x30
	s_load_dword s7, s[4:5], 0x6c
	s_load_dwordx4 s[12:15], s[4:5], 0x0
	s_load_dwordx2 s[18:19], s[4:5], 0x10
	s_waitcnt lgkmcnt(0)
	s_bitcmp1_b32 s11, 0
	s_cselect_b64 s[0:1], -1, 0
	s_bitcmp1_b32 s7, 16
	s_cselect_b64 s[16:17], -1, 0
	s_xor_b64 s[20:21], s[0:1], -1
	s_or_b64 s[20:21], s[16:17], s[20:21]
	s_and_b64 vcc, exec, s[20:21]
	s_cbranch_vccnz .LBB4_2
; %bb.1:
	s_load_dword s0, s[18:19], 0x0
	s_waitcnt lgkmcnt(0)
	v_mov_b32_e32 v23, s0
	s_branch .LBB4_3
.LBB4_2:
	v_mov_b32_e32 v1, s18
	v_cndmask_b32_e64 v23, 0, v1, s[0:1]
.LBB4_3:
	s_bitcmp1_b32 s7, 8
	s_cselect_b64 s[0:1], -1, 0
	s_xor_b64 s[18:19], s[0:1], -1
	s_or_b64 s[16:17], s[16:17], s[18:19]
	s_and_b64 vcc, exec, s[16:17]
	s_cbranch_vccnz .LBB4_5
; %bb.4:
	s_load_dword s0, s[2:3], 0x0
	s_waitcnt lgkmcnt(0)
	v_mov_b32_e32 v24, s0
	s_branch .LBB4_6
.LBB4_5:
	v_mov_b32_e32 v1, s2
	v_cndmask_b32_e64 v24, 0, v1, s[0:1]
.LBB4_6:
	s_lshl_b32 s0, s6, 3
	v_lshrrev_b32_e32 v1, 5, v0
	s_and_b32 s0, s0, 0x7fffff8
	v_or_b32_e32 v1, s0, v1
	v_mov_b32_e32 v2, 0
	v_cmp_gt_i64_e32 vcc, s[12:13], v[1:2]
	s_and_saveexec_b64 s[0:1], vcc
	s_cbranch_execz .LBB4_35
; %bb.7:
	s_load_dwordx4 s[0:3], s[4:5], 0x18
	s_load_dwordx4 s[16:19], s[4:5], 0x38
	s_load_dwordx2 s[6:7], s[4:5], 0x50
	v_lshlrev_b32_e32 v9, 3, v1
	v_mov_b32_e32 v13, s14
	v_mov_b32_e32 v14, s15
	s_waitcnt lgkmcnt(0)
	global_load_dwordx4 v[1:4], v9, s[0:1]
	global_load_dwordx4 v[5:8], v9, s[16:17]
	global_load_dwordx2 v[11:12], v9, s[6:7]
	s_waitcnt vmcnt(2)
	v_subrev_co_u32_e32 v9, vcc, s8, v1
	v_subbrev_co_u32_e32 v10, vcc, 0, v2, vcc
	v_cmp_lt_i64_e32 vcc, v[1:2], v[3:4]
	s_and_saveexec_b64 s[0:1], vcc
	s_cbranch_execz .LBB4_9
; %bb.8:
	v_lshlrev_b64 v[1:2], 3, v[9:10]
	v_mov_b32_e32 v13, s3
	v_add_co_u32_e32 v1, vcc, s2, v1
	v_addc_co_u32_e32 v2, vcc, v13, v2, vcc
	global_load_dwordx2 v[1:2], v[1:2], off
	s_waitcnt vmcnt(0)
	v_subrev_co_u32_e32 v13, vcc, s8, v1
	v_subbrev_co_u32_e32 v14, vcc, 0, v2, vcc
.LBB4_9:
	s_or_b64 exec, exec, s[0:1]
	s_load_dwordx2 s[6:7], s[4:5], 0x58
	s_load_dwordx2 s[12:13], s[4:5], 0x48
	;; [unrolled: 1-line block ×3, first 2 shown]
	s_waitcnt vmcnt(1)
	v_subrev_co_u32_e32 v15, vcc, s9, v5
	v_subbrev_co_u32_e32 v16, vcc, 0, v6, vcc
	v_cmp_lt_i64_e32 vcc, v[5:6], v[7:8]
	v_mov_b32_e32 v18, s15
	s_mov_b32 s24, s9
	v_mov_b32_e32 v17, s14
	s_and_saveexec_b64 s[0:1], vcc
	s_cbranch_execz .LBB4_11
; %bb.10:
	v_lshlrev_b64 v[1:2], 3, v[15:16]
	v_mov_b32_e32 v5, s19
	v_add_co_u32_e32 v1, vcc, s18, v1
	v_addc_co_u32_e32 v2, vcc, v5, v2, vcc
	global_load_dwordx2 v[1:2], v[1:2], off
	s_waitcnt vmcnt(0)
	v_subrev_co_u32_e32 v17, vcc, s24, v1
	v_subbrev_co_u32_e32 v18, vcc, 0, v2, vcc
.LBB4_11:
	s_or_b64 exec, exec, s[0:1]
	v_subrev_co_u32_e32 v1, vcc, s8, v3
	v_subbrev_co_u32_e32 v2, vcc, 0, v4, vcc
	v_subrev_co_u32_e32 v3, vcc, s24, v7
	v_subbrev_co_u32_e32 v4, vcc, 0, v8, vcc
	s_waitcnt vmcnt(0)
	v_subrev_co_u32_e32 v5, vcc, s10, v11
	v_subbrev_co_u32_e32 v6, vcc, 0, v12, vcc
	v_cmp_lt_i64_e32 vcc, v[17:18], v[13:14]
	v_and_b32_e32 v25, 31, v0
	v_cndmask_b32_e32 v12, v14, v18, vcc
	v_cndmask_b32_e32 v11, v13, v17, vcc
	v_add_co_u32_e32 v7, vcc, v9, v25
	v_mbcnt_lo_u32_b32 v13, -1, 0
	v_addc_co_u32_e32 v8, vcc, 0, v10, vcc
	v_mbcnt_hi_u32_b32 v13, -1, v13
	v_add_co_u32_e32 v9, vcc, v15, v25
	v_and_b32_e32 v14, 64, v13
	v_addc_co_u32_e32 v10, vcc, 0, v16, vcc
	v_add_u32_e32 v14, 64, v14
	v_xor_b32_e32 v15, 16, v13
	v_xor_b32_e32 v16, 8, v13
	v_cmp_lt_i32_e32 vcc, v15, v14
	v_xor_b32_e32 v17, 4, v13
	v_cndmask_b32_e32 v15, v13, v15, vcc
	v_cmp_lt_i32_e32 vcc, v16, v14
	v_xor_b32_e32 v18, 2, v13
	v_cndmask_b32_e32 v16, v13, v16, vcc
	;; [unrolled: 3-line block ×3, first 2 shown]
	v_cmp_lt_i32_e32 vcc, v18, v14
	v_and_b32_e32 v20, 0xe0, v0
	v_cndmask_b32_e32 v18, v13, v18, vcc
	v_cmp_lt_i32_e32 vcc, v19, v14
	v_cndmask_b32_e32 v13, v13, v19, vcc
	v_lshlrev_b32_e32 v26, 2, v20
	v_xor_b32_e32 v14, 31, v25
	v_or_b32_e32 v0, 0x400, v20
	v_lshrrev_b32_e64 v27, v14, -1
	v_lshlrev_b32_e32 v28, 2, v15
	v_lshlrev_b32_e32 v29, 2, v16
	;; [unrolled: 1-line block ×5, first 2 shown]
	s_mov_b64 s[4:5], 0
	v_mov_b32_e32 v33, 0
	v_lshl_or_b32 v34, v25, 2, v26
	v_mov_b32_e32 v35, 1
	s_branch .LBB4_13
.LBB4_12:                               ;   in Loop: Header=BB4_13 Depth=1
	s_or_b64 exec, exec, s[10:11]
	ds_bpermute_b32 v11, v28, v13
	ds_bpermute_b32 v12, v28, v14
	s_bcnt1_i32_b64 s9, vcc
	v_add_co_u32_e32 v5, vcc, s9, v5
	v_addc_co_u32_e32 v6, vcc, 0, v6, vcc
	s_waitcnt lgkmcnt(0)
	v_cmp_lt_i64_e64 s[0:1], v[11:12], v[13:14]
	v_cndmask_b32_e64 v12, v14, v12, s[0:1]
	v_cndmask_b32_e64 v11, v13, v11, s[0:1]
	ds_bpermute_b32 v14, v29, v12
	ds_bpermute_b32 v13, v29, v11
	s_waitcnt lgkmcnt(0)
	v_cmp_lt_i64_e64 s[0:1], v[13:14], v[11:12]
	v_cndmask_b32_e64 v12, v12, v14, s[0:1]
	v_cndmask_b32_e64 v11, v11, v13, s[0:1]
	ds_bpermute_b32 v14, v30, v12
	ds_bpermute_b32 v13, v30, v11
	;; [unrolled: 6-line block ×4, first 2 shown]
	s_waitcnt lgkmcnt(0)
	v_cmp_lt_i64_e64 s[0:1], v[13:14], v[11:12]
	v_cndmask_b32_e64 v12, v12, v14, s[0:1]
	v_cndmask_b32_e64 v11, v11, v13, s[0:1]
	v_cmp_le_i64_e64 s[0:1], s[14:15], v[11:12]
	s_or_b64 s[4:5], s[0:1], s[4:5]
	s_andn2_b64 exec, exec, s[4:5]
	s_cbranch_execz .LBB4_35
.LBB4_13:                               ; =>This Loop Header: Depth=1
                                        ;     Child Loop BB4_16 Depth 2
                                        ;     Child Loop BB4_26 Depth 2
	v_cmp_lt_i64_e32 vcc, v[7:8], v[1:2]
	v_mov_b32_e32 v13, s14
	v_add_u32_e32 v36, v0, v25
	v_mov_b32_e32 v14, s15
	ds_write_b8 v36, v33
	ds_write_b32 v34, v33
	s_waitcnt lgkmcnt(0)
	s_and_saveexec_b64 s[10:11], vcc
	s_cbranch_execz .LBB4_23
; %bb.14:                               ;   in Loop: Header=BB4_13 Depth=1
	v_lshlrev_b64 v[13:14], 3, v[7:8]
	v_mov_b32_e32 v16, s3
	v_add_co_u32_e32 v15, vcc, s2, v13
	v_addc_co_u32_e32 v16, vcc, v16, v14, vcc
	v_lshlrev_b64 v[13:14], 2, v[7:8]
	v_mov_b32_e32 v18, s17
	v_add_co_u32_e32 v17, vcc, s16, v13
	v_addc_co_u32_e32 v18, vcc, v18, v14, vcc
	v_mov_b32_e32 v13, s14
	s_mov_b64 s[20:21], 0
	v_mov_b32_e32 v14, s15
	s_branch .LBB4_16
.LBB4_15:                               ;   in Loop: Header=BB4_16 Depth=2
	s_or_b64 exec, exec, s[22:23]
	s_and_b64 s[0:1], exec, s[0:1]
	s_or_b64 s[20:21], s[0:1], s[20:21]
	s_andn2_b64 exec, exec, s[20:21]
	s_cbranch_execz .LBB4_22
.LBB4_16:                               ;   Parent Loop BB4_13 Depth=1
                                        ; =>  This Inner Loop Header: Depth=2
	global_load_dwordx2 v[19:20], v[15:16], off
	s_waitcnt vmcnt(0)
	v_subrev_co_u32_e32 v21, vcc, s8, v19
	v_subbrev_co_u32_e32 v22, vcc, 0, v20, vcc
	v_sub_co_u32_e32 v19, vcc, v21, v11
	v_subb_co_u32_e32 v20, vcc, v22, v12, vcc
	v_cmp_gt_i64_e32 vcc, 32, v[19:20]
	v_cmp_lt_i64_e64 s[0:1], 31, v[19:20]
	s_and_saveexec_b64 s[22:23], s[0:1]
	s_xor_b64 s[22:23], exec, s[22:23]
	s_cbranch_execnz .LBB4_19
; %bb.17:                               ;   in Loop: Header=BB4_16 Depth=2
	s_andn2_saveexec_b64 s[0:1], s[22:23]
	s_cbranch_execnz .LBB4_20
.LBB4_18:                               ;   in Loop: Header=BB4_16 Depth=2
	s_or_b64 exec, exec, s[0:1]
	s_mov_b64 s[0:1], -1
	s_and_saveexec_b64 s[22:23], vcc
	s_cbranch_execz .LBB4_15
	s_branch .LBB4_21
.LBB4_19:                               ;   in Loop: Header=BB4_16 Depth=2
	v_cmp_lt_i64_e64 s[0:1], v[21:22], v[13:14]
                                        ; implicit-def: $vgpr19
	v_cndmask_b32_e64 v14, v14, v22, s[0:1]
	v_cndmask_b32_e64 v13, v13, v21, s[0:1]
	s_andn2_saveexec_b64 s[0:1], s[22:23]
	s_cbranch_execz .LBB4_18
.LBB4_20:                               ;   in Loop: Header=BB4_16 Depth=2
	global_load_dword v20, v[17:18], off
	v_add_u32_e32 v21, v0, v19
	v_lshl_add_u32 v19, v19, 2, v26
	ds_write_b8 v21, v35
	s_waitcnt vmcnt(0)
	v_mul_f32_e32 v20, v23, v20
	ds_write_b32 v19, v20
	s_or_b64 exec, exec, s[0:1]
	s_mov_b64 s[0:1], -1
	s_and_saveexec_b64 s[22:23], vcc
	s_cbranch_execz .LBB4_15
.LBB4_21:                               ;   in Loop: Header=BB4_16 Depth=2
	v_add_co_u32_e32 v7, vcc, 32, v7
	v_addc_co_u32_e32 v8, vcc, 0, v8, vcc
	v_add_co_u32_e32 v15, vcc, 0x100, v15
	v_addc_co_u32_e32 v16, vcc, 0, v16, vcc
	v_cmp_ge_i64_e64 s[0:1], v[7:8], v[1:2]
	v_add_co_u32_e32 v17, vcc, 0x80, v17
	v_addc_co_u32_e32 v18, vcc, 0, v18, vcc
	s_orn2_b64 s[0:1], s[0:1], exec
	s_branch .LBB4_15
.LBB4_22:                               ;   in Loop: Header=BB4_13 Depth=1
	s_or_b64 exec, exec, s[20:21]
.LBB4_23:                               ;   in Loop: Header=BB4_13 Depth=1
	s_or_b64 exec, exec, s[10:11]
	v_cmp_lt_i64_e32 vcc, v[9:10], v[3:4]
	s_waitcnt lgkmcnt(0)
	s_and_saveexec_b64 s[10:11], vcc
	s_cbranch_execz .LBB4_33
; %bb.24:                               ;   in Loop: Header=BB4_13 Depth=1
	v_lshlrev_b64 v[15:16], 3, v[9:10]
	v_mov_b32_e32 v17, s19
	v_add_co_u32_e32 v15, vcc, s18, v15
	v_addc_co_u32_e32 v16, vcc, v17, v16, vcc
	v_lshlrev_b64 v[17:18], 2, v[9:10]
	v_mov_b32_e32 v19, s13
	v_add_co_u32_e32 v17, vcc, s12, v17
	v_addc_co_u32_e32 v18, vcc, v19, v18, vcc
	s_mov_b64 s[20:21], 0
	s_branch .LBB4_26
.LBB4_25:                               ;   in Loop: Header=BB4_26 Depth=2
	s_or_b64 exec, exec, s[22:23]
	s_and_b64 s[0:1], exec, s[0:1]
	s_or_b64 s[20:21], s[0:1], s[20:21]
	s_andn2_b64 exec, exec, s[20:21]
	s_cbranch_execz .LBB4_32
.LBB4_26:                               ;   Parent Loop BB4_13 Depth=1
                                        ; =>  This Inner Loop Header: Depth=2
	global_load_dwordx2 v[19:20], v[15:16], off
	s_waitcnt vmcnt(0)
	v_subrev_co_u32_e32 v21, vcc, s24, v19
	v_subbrev_co_u32_e32 v22, vcc, 0, v20, vcc
	v_sub_co_u32_e32 v19, vcc, v21, v11
	v_subb_co_u32_e32 v20, vcc, v22, v12, vcc
	v_cmp_gt_i64_e32 vcc, 32, v[19:20]
	v_cmp_lt_i64_e64 s[0:1], 31, v[19:20]
	s_and_saveexec_b64 s[22:23], s[0:1]
	s_xor_b64 s[22:23], exec, s[22:23]
	s_cbranch_execnz .LBB4_29
; %bb.27:                               ;   in Loop: Header=BB4_26 Depth=2
	s_andn2_saveexec_b64 s[0:1], s[22:23]
	s_cbranch_execnz .LBB4_30
.LBB4_28:                               ;   in Loop: Header=BB4_26 Depth=2
	s_or_b64 exec, exec, s[0:1]
	s_mov_b64 s[0:1], -1
	s_and_saveexec_b64 s[22:23], vcc
	s_cbranch_execz .LBB4_25
	s_branch .LBB4_31
.LBB4_29:                               ;   in Loop: Header=BB4_26 Depth=2
	v_cmp_lt_i64_e64 s[0:1], v[21:22], v[13:14]
                                        ; implicit-def: $vgpr19
	v_cndmask_b32_e64 v14, v14, v22, s[0:1]
	v_cndmask_b32_e64 v13, v13, v21, s[0:1]
	s_andn2_saveexec_b64 s[0:1], s[22:23]
	s_cbranch_execz .LBB4_28
.LBB4_30:                               ;   in Loop: Header=BB4_26 Depth=2
	global_load_dword v20, v[17:18], off
	v_lshl_add_u32 v21, v19, 2, v26
	ds_read_b32 v22, v21
	v_add_u32_e32 v19, v0, v19
	ds_write_b8 v19, v35
	s_waitcnt vmcnt(0) lgkmcnt(1)
	v_fmac_f32_e32 v22, v24, v20
	ds_write_b32 v21, v22
	s_or_b64 exec, exec, s[0:1]
	s_mov_b64 s[0:1], -1
	s_and_saveexec_b64 s[22:23], vcc
	s_cbranch_execz .LBB4_25
.LBB4_31:                               ;   in Loop: Header=BB4_26 Depth=2
	v_add_co_u32_e32 v9, vcc, 32, v9
	v_addc_co_u32_e32 v10, vcc, 0, v10, vcc
	v_add_co_u32_e32 v15, vcc, 0x100, v15
	v_addc_co_u32_e32 v16, vcc, 0, v16, vcc
	v_cmp_ge_i64_e64 s[0:1], v[9:10], v[3:4]
	v_add_co_u32_e32 v17, vcc, 0x80, v17
	v_addc_co_u32_e32 v18, vcc, 0, v18, vcc
	s_orn2_b64 s[0:1], s[0:1], exec
	s_branch .LBB4_25
.LBB4_32:                               ;   in Loop: Header=BB4_13 Depth=1
	s_or_b64 exec, exec, s[20:21]
.LBB4_33:                               ;   in Loop: Header=BB4_13 Depth=1
	s_or_b64 exec, exec, s[10:11]
	s_waitcnt lgkmcnt(0)
	ds_read_u8 v11, v36
	s_waitcnt lgkmcnt(0)
	v_and_b32_e32 v12, 1, v11
	v_cmp_eq_u32_e64 s[0:1], 1, v12
	v_cmp_ne_u16_e32 vcc, 0, v11
	s_and_saveexec_b64 s[10:11], s[0:1]
	s_cbranch_execz .LBB4_12
; %bb.34:                               ;   in Loop: Header=BB4_13 Depth=1
	v_lshlrev_b64 v[11:12], 2, v[5:6]
	v_mov_b32_e32 v15, s7
	v_add_co_u32_e64 v11, s[0:1], s6, v11
	v_addc_co_u32_e64 v12, s[0:1], v15, v12, s[0:1]
	v_and_b32_e32 v15, vcc_lo, v27
	ds_read_b32 v16, v34
	v_bcnt_u32_b32 v15, v15, 0
	v_lshlrev_b32_e32 v15, 2, v15
	v_add_co_u32_e64 v11, s[0:1], v11, v15
	v_addc_co_u32_e64 v12, s[0:1], 0, v12, s[0:1]
	s_waitcnt lgkmcnt(0)
	global_store_dword v[11:12], v16, off offset:-4
	s_branch .LBB4_12
.LBB4_35:
	s_endpgm
	.section	.rodata,"a",@progbits
	.p2align	6, 0x0
	.amdhsa_kernel _ZN9rocsparseL37csrgeam_fill_numeric_multipass_kernelILj256ELj32EllfEEvllNS_24const_host_device_scalarIT3_EEPKT1_PKT2_PKS2_S3_S6_S9_SB_S6_PS2_21rocsparse_index_base_SD_SD_bbb
		.amdhsa_group_segment_fixed_size 1280
		.amdhsa_private_segment_fixed_size 0
		.amdhsa_kernarg_size 112
		.amdhsa_user_sgpr_count 6
		.amdhsa_user_sgpr_private_segment_buffer 1
		.amdhsa_user_sgpr_dispatch_ptr 0
		.amdhsa_user_sgpr_queue_ptr 0
		.amdhsa_user_sgpr_kernarg_segment_ptr 1
		.amdhsa_user_sgpr_dispatch_id 0
		.amdhsa_user_sgpr_flat_scratch_init 0
		.amdhsa_user_sgpr_private_segment_size 0
		.amdhsa_uses_dynamic_stack 0
		.amdhsa_system_sgpr_private_segment_wavefront_offset 0
		.amdhsa_system_sgpr_workgroup_id_x 1
		.amdhsa_system_sgpr_workgroup_id_y 0
		.amdhsa_system_sgpr_workgroup_id_z 0
		.amdhsa_system_sgpr_workgroup_info 0
		.amdhsa_system_vgpr_workitem_id 0
		.amdhsa_next_free_vgpr 37
		.amdhsa_next_free_sgpr 25
		.amdhsa_reserve_vcc 1
		.amdhsa_reserve_flat_scratch 0
		.amdhsa_float_round_mode_32 0
		.amdhsa_float_round_mode_16_64 0
		.amdhsa_float_denorm_mode_32 3
		.amdhsa_float_denorm_mode_16_64 3
		.amdhsa_dx10_clamp 1
		.amdhsa_ieee_mode 1
		.amdhsa_fp16_overflow 0
		.amdhsa_exception_fp_ieee_invalid_op 0
		.amdhsa_exception_fp_denorm_src 0
		.amdhsa_exception_fp_ieee_div_zero 0
		.amdhsa_exception_fp_ieee_overflow 0
		.amdhsa_exception_fp_ieee_underflow 0
		.amdhsa_exception_fp_ieee_inexact 0
		.amdhsa_exception_int_div_zero 0
	.end_amdhsa_kernel
	.section	.text._ZN9rocsparseL37csrgeam_fill_numeric_multipass_kernelILj256ELj32EllfEEvllNS_24const_host_device_scalarIT3_EEPKT1_PKT2_PKS2_S3_S6_S9_SB_S6_PS2_21rocsparse_index_base_SD_SD_bbb,"axG",@progbits,_ZN9rocsparseL37csrgeam_fill_numeric_multipass_kernelILj256ELj32EllfEEvllNS_24const_host_device_scalarIT3_EEPKT1_PKT2_PKS2_S3_S6_S9_SB_S6_PS2_21rocsparse_index_base_SD_SD_bbb,comdat
.Lfunc_end4:
	.size	_ZN9rocsparseL37csrgeam_fill_numeric_multipass_kernelILj256ELj32EllfEEvllNS_24const_host_device_scalarIT3_EEPKT1_PKT2_PKS2_S3_S6_S9_SB_S6_PS2_21rocsparse_index_base_SD_SD_bbb, .Lfunc_end4-_ZN9rocsparseL37csrgeam_fill_numeric_multipass_kernelILj256ELj32EllfEEvllNS_24const_host_device_scalarIT3_EEPKT1_PKT2_PKS2_S3_S6_S9_SB_S6_PS2_21rocsparse_index_base_SD_SD_bbb
                                        ; -- End function
	.set _ZN9rocsparseL37csrgeam_fill_numeric_multipass_kernelILj256ELj32EllfEEvllNS_24const_host_device_scalarIT3_EEPKT1_PKT2_PKS2_S3_S6_S9_SB_S6_PS2_21rocsparse_index_base_SD_SD_bbb.num_vgpr, 37
	.set _ZN9rocsparseL37csrgeam_fill_numeric_multipass_kernelILj256ELj32EllfEEvllNS_24const_host_device_scalarIT3_EEPKT1_PKT2_PKS2_S3_S6_S9_SB_S6_PS2_21rocsparse_index_base_SD_SD_bbb.num_agpr, 0
	.set _ZN9rocsparseL37csrgeam_fill_numeric_multipass_kernelILj256ELj32EllfEEvllNS_24const_host_device_scalarIT3_EEPKT1_PKT2_PKS2_S3_S6_S9_SB_S6_PS2_21rocsparse_index_base_SD_SD_bbb.numbered_sgpr, 25
	.set _ZN9rocsparseL37csrgeam_fill_numeric_multipass_kernelILj256ELj32EllfEEvllNS_24const_host_device_scalarIT3_EEPKT1_PKT2_PKS2_S3_S6_S9_SB_S6_PS2_21rocsparse_index_base_SD_SD_bbb.num_named_barrier, 0
	.set _ZN9rocsparseL37csrgeam_fill_numeric_multipass_kernelILj256ELj32EllfEEvllNS_24const_host_device_scalarIT3_EEPKT1_PKT2_PKS2_S3_S6_S9_SB_S6_PS2_21rocsparse_index_base_SD_SD_bbb.private_seg_size, 0
	.set _ZN9rocsparseL37csrgeam_fill_numeric_multipass_kernelILj256ELj32EllfEEvllNS_24const_host_device_scalarIT3_EEPKT1_PKT2_PKS2_S3_S6_S9_SB_S6_PS2_21rocsparse_index_base_SD_SD_bbb.uses_vcc, 1
	.set _ZN9rocsparseL37csrgeam_fill_numeric_multipass_kernelILj256ELj32EllfEEvllNS_24const_host_device_scalarIT3_EEPKT1_PKT2_PKS2_S3_S6_S9_SB_S6_PS2_21rocsparse_index_base_SD_SD_bbb.uses_flat_scratch, 0
	.set _ZN9rocsparseL37csrgeam_fill_numeric_multipass_kernelILj256ELj32EllfEEvllNS_24const_host_device_scalarIT3_EEPKT1_PKT2_PKS2_S3_S6_S9_SB_S6_PS2_21rocsparse_index_base_SD_SD_bbb.has_dyn_sized_stack, 0
	.set _ZN9rocsparseL37csrgeam_fill_numeric_multipass_kernelILj256ELj32EllfEEvllNS_24const_host_device_scalarIT3_EEPKT1_PKT2_PKS2_S3_S6_S9_SB_S6_PS2_21rocsparse_index_base_SD_SD_bbb.has_recursion, 0
	.set _ZN9rocsparseL37csrgeam_fill_numeric_multipass_kernelILj256ELj32EllfEEvllNS_24const_host_device_scalarIT3_EEPKT1_PKT2_PKS2_S3_S6_S9_SB_S6_PS2_21rocsparse_index_base_SD_SD_bbb.has_indirect_call, 0
	.section	.AMDGPU.csdata,"",@progbits
; Kernel info:
; codeLenInByte = 1708
; TotalNumSgprs: 29
; NumVgprs: 37
; ScratchSize: 0
; MemoryBound: 0
; FloatMode: 240
; IeeeMode: 1
; LDSByteSize: 1280 bytes/workgroup (compile time only)
; SGPRBlocks: 3
; VGPRBlocks: 9
; NumSGPRsForWavesPerEU: 29
; NumVGPRsForWavesPerEU: 37
; Occupancy: 6
; WaveLimiterHint : 1
; COMPUTE_PGM_RSRC2:SCRATCH_EN: 0
; COMPUTE_PGM_RSRC2:USER_SGPR: 6
; COMPUTE_PGM_RSRC2:TRAP_HANDLER: 0
; COMPUTE_PGM_RSRC2:TGID_X_EN: 1
; COMPUTE_PGM_RSRC2:TGID_Y_EN: 0
; COMPUTE_PGM_RSRC2:TGID_Z_EN: 0
; COMPUTE_PGM_RSRC2:TIDIG_COMP_CNT: 0
	.section	.text._ZN9rocsparseL37csrgeam_fill_numeric_multipass_kernelILj256ELj64EllfEEvllNS_24const_host_device_scalarIT3_EEPKT1_PKT2_PKS2_S3_S6_S9_SB_S6_PS2_21rocsparse_index_base_SD_SD_bbb,"axG",@progbits,_ZN9rocsparseL37csrgeam_fill_numeric_multipass_kernelILj256ELj64EllfEEvllNS_24const_host_device_scalarIT3_EEPKT1_PKT2_PKS2_S3_S6_S9_SB_S6_PS2_21rocsparse_index_base_SD_SD_bbb,comdat
	.globl	_ZN9rocsparseL37csrgeam_fill_numeric_multipass_kernelILj256ELj64EllfEEvllNS_24const_host_device_scalarIT3_EEPKT1_PKT2_PKS2_S3_S6_S9_SB_S6_PS2_21rocsparse_index_base_SD_SD_bbb ; -- Begin function _ZN9rocsparseL37csrgeam_fill_numeric_multipass_kernelILj256ELj64EllfEEvllNS_24const_host_device_scalarIT3_EEPKT1_PKT2_PKS2_S3_S6_S9_SB_S6_PS2_21rocsparse_index_base_SD_SD_bbb
	.p2align	8
	.type	_ZN9rocsparseL37csrgeam_fill_numeric_multipass_kernelILj256ELj64EllfEEvllNS_24const_host_device_scalarIT3_EEPKT1_PKT2_PKS2_S3_S6_S9_SB_S6_PS2_21rocsparse_index_base_SD_SD_bbb,@function
_ZN9rocsparseL37csrgeam_fill_numeric_multipass_kernelILj256ELj64EllfEEvllNS_24const_host_device_scalarIT3_EEPKT1_PKT2_PKS2_S3_S6_S9_SB_S6_PS2_21rocsparse_index_base_SD_SD_bbb: ; @_ZN9rocsparseL37csrgeam_fill_numeric_multipass_kernelILj256ELj64EllfEEvllNS_24const_host_device_scalarIT3_EEPKT1_PKT2_PKS2_S3_S6_S9_SB_S6_PS2_21rocsparse_index_base_SD_SD_bbb
; %bb.0:
	s_load_dwordx4 s[8:11], s[4:5], 0x60
	s_load_dwordx2 s[2:3], s[4:5], 0x30
	s_load_dword s7, s[4:5], 0x6c
	s_load_dwordx4 s[12:15], s[4:5], 0x0
	s_load_dwordx2 s[18:19], s[4:5], 0x10
	s_waitcnt lgkmcnt(0)
	s_bitcmp1_b32 s11, 0
	s_cselect_b64 s[0:1], -1, 0
	s_bitcmp1_b32 s7, 16
	s_cselect_b64 s[16:17], -1, 0
	s_xor_b64 s[20:21], s[0:1], -1
	s_or_b64 s[20:21], s[16:17], s[20:21]
	s_and_b64 vcc, exec, s[20:21]
	s_cbranch_vccnz .LBB5_2
; %bb.1:
	s_load_dword s0, s[18:19], 0x0
	s_waitcnt lgkmcnt(0)
	v_mov_b32_e32 v25, s0
	s_branch .LBB5_3
.LBB5_2:
	v_mov_b32_e32 v1, s18
	v_cndmask_b32_e64 v25, 0, v1, s[0:1]
.LBB5_3:
	s_bitcmp1_b32 s7, 8
	s_cselect_b64 s[0:1], -1, 0
	s_xor_b64 s[18:19], s[0:1], -1
	s_or_b64 s[16:17], s[16:17], s[18:19]
	s_and_b64 vcc, exec, s[16:17]
	s_cbranch_vccnz .LBB5_5
; %bb.4:
	s_load_dword s0, s[2:3], 0x0
	s_waitcnt lgkmcnt(0)
	v_mov_b32_e32 v26, s0
	s_branch .LBB5_6
.LBB5_5:
	v_mov_b32_e32 v1, s2
	v_cndmask_b32_e64 v26, 0, v1, s[0:1]
.LBB5_6:
	s_lshl_b32 s0, s6, 2
	v_lshrrev_b32_e32 v1, 6, v0
	s_and_b32 s0, s0, 0x3fffffc
	v_or_b32_e32 v1, s0, v1
	v_mov_b32_e32 v2, 0
	v_cmp_gt_i64_e32 vcc, s[12:13], v[1:2]
	s_and_saveexec_b64 s[0:1], vcc
	s_cbranch_execz .LBB5_35
; %bb.7:
	s_load_dwordx4 s[0:3], s[4:5], 0x18
	s_load_dwordx4 s[16:19], s[4:5], 0x38
	s_load_dwordx2 s[6:7], s[4:5], 0x50
	v_lshlrev_b32_e32 v9, 3, v1
	v_mov_b32_e32 v13, s14
	v_mov_b32_e32 v14, s15
	s_waitcnt lgkmcnt(0)
	global_load_dwordx4 v[1:4], v9, s[0:1]
	global_load_dwordx4 v[5:8], v9, s[16:17]
	global_load_dwordx2 v[11:12], v9, s[6:7]
	s_waitcnt vmcnt(2)
	v_subrev_co_u32_e32 v9, vcc, s8, v1
	v_subbrev_co_u32_e32 v10, vcc, 0, v2, vcc
	v_cmp_lt_i64_e32 vcc, v[1:2], v[3:4]
	s_and_saveexec_b64 s[0:1], vcc
	s_cbranch_execz .LBB5_9
; %bb.8:
	v_lshlrev_b64 v[1:2], 3, v[9:10]
	v_mov_b32_e32 v13, s3
	v_add_co_u32_e32 v1, vcc, s2, v1
	v_addc_co_u32_e32 v2, vcc, v13, v2, vcc
	global_load_dwordx2 v[1:2], v[1:2], off
	s_waitcnt vmcnt(0)
	v_subrev_co_u32_e32 v13, vcc, s8, v1
	v_subbrev_co_u32_e32 v14, vcc, 0, v2, vcc
.LBB5_9:
	s_or_b64 exec, exec, s[0:1]
	s_load_dwordx2 s[6:7], s[4:5], 0x58
	s_load_dwordx2 s[12:13], s[4:5], 0x48
	;; [unrolled: 1-line block ×3, first 2 shown]
	s_waitcnt vmcnt(1)
	v_subrev_co_u32_e32 v15, vcc, s9, v5
	v_subbrev_co_u32_e32 v16, vcc, 0, v6, vcc
	v_cmp_lt_i64_e32 vcc, v[5:6], v[7:8]
	v_mov_b32_e32 v18, s15
	s_mov_b32 s24, s9
	v_mov_b32_e32 v17, s14
	s_and_saveexec_b64 s[0:1], vcc
	s_cbranch_execz .LBB5_11
; %bb.10:
	v_lshlrev_b64 v[1:2], 3, v[15:16]
	v_mov_b32_e32 v5, s19
	v_add_co_u32_e32 v1, vcc, s18, v1
	v_addc_co_u32_e32 v2, vcc, v5, v2, vcc
	global_load_dwordx2 v[1:2], v[1:2], off
	s_waitcnt vmcnt(0)
	v_subrev_co_u32_e32 v17, vcc, s24, v1
	v_subbrev_co_u32_e32 v18, vcc, 0, v2, vcc
.LBB5_11:
	s_or_b64 exec, exec, s[0:1]
	v_subrev_co_u32_e32 v1, vcc, s8, v3
	v_subbrev_co_u32_e32 v2, vcc, 0, v4, vcc
	v_subrev_co_u32_e32 v3, vcc, s24, v7
	v_subbrev_co_u32_e32 v4, vcc, 0, v8, vcc
	s_waitcnt vmcnt(0)
	v_subrev_co_u32_e32 v5, vcc, s10, v11
	v_subbrev_co_u32_e32 v6, vcc, 0, v12, vcc
	v_cmp_lt_i64_e32 vcc, v[17:18], v[13:14]
	v_and_b32_e32 v27, 63, v0
	v_cndmask_b32_e32 v14, v14, v18, vcc
	v_cndmask_b32_e32 v13, v13, v17, vcc
	v_add_co_u32_e32 v7, vcc, v9, v27
	v_mbcnt_lo_u32_b32 v11, -1, 0
	v_addc_co_u32_e32 v8, vcc, 0, v10, vcc
	v_mbcnt_hi_u32_b32 v11, -1, v11
	v_add_co_u32_e32 v9, vcc, v15, v27
	v_and_b32_e32 v12, 64, v11
	v_addc_co_u32_e32 v10, vcc, 0, v16, vcc
	v_add_u32_e32 v12, 64, v12
	v_xor_b32_e32 v20, 32, v11
	v_xor_b32_e32 v15, 16, v11
	v_cmp_lt_i32_e32 vcc, v20, v12
	v_xor_b32_e32 v16, 8, v11
	v_cndmask_b32_e32 v20, v11, v20, vcc
	v_cmp_lt_i32_e32 vcc, v15, v12
	v_xor_b32_e32 v17, 4, v11
	v_cndmask_b32_e32 v15, v11, v15, vcc
	;; [unrolled: 3-line block ×4, first 2 shown]
	v_cmp_lt_i32_e32 vcc, v18, v12
	v_cndmask_b32_e32 v18, v11, v18, vcc
	v_cmp_lt_i32_e32 vcc, v19, v12
	v_cndmask_b32_e32 v11, v11, v19, vcc
	v_and_b32_e32 v12, 0xc0, v0
	v_lshlrev_b32_e32 v34, 2, v11
	v_xor_b32_e32 v11, 63, v27
	v_or_b32_e32 v0, 0x400, v12
	v_lshlrev_b32_e32 v28, 2, v12
	v_lshrrev_b64 v[11:12], v11, -1
	v_lshlrev_b32_e32 v29, 2, v20
	v_lshlrev_b32_e32 v30, 2, v15
	;; [unrolled: 1-line block ×5, first 2 shown]
	s_mov_b64 s[4:5], 0
	v_mov_b32_e32 v35, 0
	v_lshl_or_b32 v36, v27, 2, v28
	v_mov_b32_e32 v37, 1
	s_branch .LBB5_13
.LBB5_12:                               ;   in Loop: Header=BB5_13 Depth=1
	s_or_b64 exec, exec, s[10:11]
	ds_bpermute_b32 v13, v29, v15
	ds_bpermute_b32 v14, v29, v16
	s_bcnt1_i32_b64 s9, vcc
	v_add_co_u32_e32 v5, vcc, s9, v5
	v_addc_co_u32_e32 v6, vcc, 0, v6, vcc
	s_waitcnt lgkmcnt(0)
	v_cmp_lt_i64_e64 s[0:1], v[13:14], v[15:16]
	v_cndmask_b32_e64 v14, v16, v14, s[0:1]
	v_cndmask_b32_e64 v13, v15, v13, s[0:1]
	ds_bpermute_b32 v16, v30, v14
	ds_bpermute_b32 v15, v30, v13
	s_waitcnt lgkmcnt(0)
	v_cmp_lt_i64_e64 s[0:1], v[15:16], v[13:14]
	v_cndmask_b32_e64 v14, v14, v16, s[0:1]
	v_cndmask_b32_e64 v13, v13, v15, s[0:1]
	ds_bpermute_b32 v16, v31, v14
	ds_bpermute_b32 v15, v31, v13
	;; [unrolled: 6-line block ×5, first 2 shown]
	s_waitcnt lgkmcnt(0)
	v_cmp_lt_i64_e64 s[0:1], v[15:16], v[13:14]
	v_cndmask_b32_e64 v14, v14, v16, s[0:1]
	v_cndmask_b32_e64 v13, v13, v15, s[0:1]
	v_cmp_le_i64_e64 s[0:1], s[14:15], v[13:14]
	s_or_b64 s[4:5], s[0:1], s[4:5]
	s_andn2_b64 exec, exec, s[4:5]
	s_cbranch_execz .LBB5_35
.LBB5_13:                               ; =>This Loop Header: Depth=1
                                        ;     Child Loop BB5_16 Depth 2
                                        ;     Child Loop BB5_26 Depth 2
	v_cmp_lt_i64_e32 vcc, v[7:8], v[1:2]
	v_mov_b32_e32 v16, s15
	v_add_u32_e32 v38, v0, v27
	v_mov_b32_e32 v15, s14
	ds_write_b8 v38, v35
	ds_write_b32 v36, v35
	s_waitcnt lgkmcnt(0)
	s_and_saveexec_b64 s[10:11], vcc
	s_cbranch_execz .LBB5_23
; %bb.14:                               ;   in Loop: Header=BB5_13 Depth=1
	v_lshlrev_b64 v[15:16], 3, v[7:8]
	v_mov_b32_e32 v18, s3
	v_add_co_u32_e32 v17, vcc, s2, v15
	v_addc_co_u32_e32 v18, vcc, v18, v16, vcc
	v_lshlrev_b64 v[15:16], 2, v[7:8]
	v_mov_b32_e32 v20, s17
	v_add_co_u32_e32 v19, vcc, s16, v15
	v_addc_co_u32_e32 v20, vcc, v20, v16, vcc
	v_mov_b32_e32 v16, s15
	s_mov_b64 s[20:21], 0
	v_mov_b32_e32 v15, s14
	s_branch .LBB5_16
.LBB5_15:                               ;   in Loop: Header=BB5_16 Depth=2
	s_or_b64 exec, exec, s[22:23]
	s_and_b64 s[0:1], exec, s[0:1]
	s_or_b64 s[20:21], s[0:1], s[20:21]
	s_andn2_b64 exec, exec, s[20:21]
	s_cbranch_execz .LBB5_22
.LBB5_16:                               ;   Parent Loop BB5_13 Depth=1
                                        ; =>  This Inner Loop Header: Depth=2
	global_load_dwordx2 v[21:22], v[17:18], off
	s_waitcnt vmcnt(0)
	v_subrev_co_u32_e32 v23, vcc, s8, v21
	v_subbrev_co_u32_e32 v24, vcc, 0, v22, vcc
	v_sub_co_u32_e32 v21, vcc, v23, v13
	v_subb_co_u32_e32 v22, vcc, v24, v14, vcc
	v_cmp_gt_i64_e32 vcc, 64, v[21:22]
	v_cmp_lt_i64_e64 s[0:1], 63, v[21:22]
	s_and_saveexec_b64 s[22:23], s[0:1]
	s_xor_b64 s[22:23], exec, s[22:23]
	s_cbranch_execnz .LBB5_19
; %bb.17:                               ;   in Loop: Header=BB5_16 Depth=2
	s_andn2_saveexec_b64 s[0:1], s[22:23]
	s_cbranch_execnz .LBB5_20
.LBB5_18:                               ;   in Loop: Header=BB5_16 Depth=2
	s_or_b64 exec, exec, s[0:1]
	s_mov_b64 s[0:1], -1
	s_and_saveexec_b64 s[22:23], vcc
	s_cbranch_execz .LBB5_15
	s_branch .LBB5_21
.LBB5_19:                               ;   in Loop: Header=BB5_16 Depth=2
	v_cmp_lt_i64_e64 s[0:1], v[23:24], v[15:16]
                                        ; implicit-def: $vgpr21
	v_cndmask_b32_e64 v16, v16, v24, s[0:1]
	v_cndmask_b32_e64 v15, v15, v23, s[0:1]
	s_andn2_saveexec_b64 s[0:1], s[22:23]
	s_cbranch_execz .LBB5_18
.LBB5_20:                               ;   in Loop: Header=BB5_16 Depth=2
	global_load_dword v22, v[19:20], off
	v_add_u32_e32 v23, v0, v21
	v_lshl_add_u32 v21, v21, 2, v28
	ds_write_b8 v23, v37
	s_waitcnt vmcnt(0)
	v_mul_f32_e32 v22, v25, v22
	ds_write_b32 v21, v22
	s_or_b64 exec, exec, s[0:1]
	s_mov_b64 s[0:1], -1
	s_and_saveexec_b64 s[22:23], vcc
	s_cbranch_execz .LBB5_15
.LBB5_21:                               ;   in Loop: Header=BB5_16 Depth=2
	v_add_co_u32_e32 v7, vcc, 64, v7
	v_addc_co_u32_e32 v8, vcc, 0, v8, vcc
	v_add_co_u32_e32 v17, vcc, 0x200, v17
	v_addc_co_u32_e32 v18, vcc, 0, v18, vcc
	v_cmp_ge_i64_e64 s[0:1], v[7:8], v[1:2]
	v_add_co_u32_e32 v19, vcc, 0x100, v19
	v_addc_co_u32_e32 v20, vcc, 0, v20, vcc
	s_orn2_b64 s[0:1], s[0:1], exec
	s_branch .LBB5_15
.LBB5_22:                               ;   in Loop: Header=BB5_13 Depth=1
	s_or_b64 exec, exec, s[20:21]
.LBB5_23:                               ;   in Loop: Header=BB5_13 Depth=1
	s_or_b64 exec, exec, s[10:11]
	v_cmp_lt_i64_e32 vcc, v[9:10], v[3:4]
	s_waitcnt lgkmcnt(0)
	s_and_saveexec_b64 s[10:11], vcc
	s_cbranch_execz .LBB5_33
; %bb.24:                               ;   in Loop: Header=BB5_13 Depth=1
	v_lshlrev_b64 v[17:18], 3, v[9:10]
	v_mov_b32_e32 v19, s19
	v_add_co_u32_e32 v17, vcc, s18, v17
	v_addc_co_u32_e32 v18, vcc, v19, v18, vcc
	v_lshlrev_b64 v[19:20], 2, v[9:10]
	v_mov_b32_e32 v21, s13
	v_add_co_u32_e32 v19, vcc, s12, v19
	v_addc_co_u32_e32 v20, vcc, v21, v20, vcc
	s_mov_b64 s[20:21], 0
	s_branch .LBB5_26
.LBB5_25:                               ;   in Loop: Header=BB5_26 Depth=2
	s_or_b64 exec, exec, s[22:23]
	s_and_b64 s[0:1], exec, s[0:1]
	s_or_b64 s[20:21], s[0:1], s[20:21]
	s_andn2_b64 exec, exec, s[20:21]
	s_cbranch_execz .LBB5_32
.LBB5_26:                               ;   Parent Loop BB5_13 Depth=1
                                        ; =>  This Inner Loop Header: Depth=2
	global_load_dwordx2 v[21:22], v[17:18], off
	s_waitcnt vmcnt(0)
	v_subrev_co_u32_e32 v23, vcc, s24, v21
	v_subbrev_co_u32_e32 v24, vcc, 0, v22, vcc
	v_sub_co_u32_e32 v21, vcc, v23, v13
	v_subb_co_u32_e32 v22, vcc, v24, v14, vcc
	v_cmp_gt_i64_e32 vcc, 64, v[21:22]
	v_cmp_lt_i64_e64 s[0:1], 63, v[21:22]
	s_and_saveexec_b64 s[22:23], s[0:1]
	s_xor_b64 s[22:23], exec, s[22:23]
	s_cbranch_execnz .LBB5_29
; %bb.27:                               ;   in Loop: Header=BB5_26 Depth=2
	s_andn2_saveexec_b64 s[0:1], s[22:23]
	s_cbranch_execnz .LBB5_30
.LBB5_28:                               ;   in Loop: Header=BB5_26 Depth=2
	s_or_b64 exec, exec, s[0:1]
	s_mov_b64 s[0:1], -1
	s_and_saveexec_b64 s[22:23], vcc
	s_cbranch_execz .LBB5_25
	s_branch .LBB5_31
.LBB5_29:                               ;   in Loop: Header=BB5_26 Depth=2
	v_cmp_lt_i64_e64 s[0:1], v[23:24], v[15:16]
                                        ; implicit-def: $vgpr21
	v_cndmask_b32_e64 v16, v16, v24, s[0:1]
	v_cndmask_b32_e64 v15, v15, v23, s[0:1]
	s_andn2_saveexec_b64 s[0:1], s[22:23]
	s_cbranch_execz .LBB5_28
.LBB5_30:                               ;   in Loop: Header=BB5_26 Depth=2
	global_load_dword v22, v[19:20], off
	v_lshl_add_u32 v23, v21, 2, v28
	ds_read_b32 v24, v23
	v_add_u32_e32 v21, v0, v21
	ds_write_b8 v21, v37
	s_waitcnt vmcnt(0) lgkmcnt(1)
	v_fmac_f32_e32 v24, v26, v22
	ds_write_b32 v23, v24
	s_or_b64 exec, exec, s[0:1]
	s_mov_b64 s[0:1], -1
	s_and_saveexec_b64 s[22:23], vcc
	s_cbranch_execz .LBB5_25
.LBB5_31:                               ;   in Loop: Header=BB5_26 Depth=2
	v_add_co_u32_e32 v9, vcc, 64, v9
	v_addc_co_u32_e32 v10, vcc, 0, v10, vcc
	v_add_co_u32_e32 v17, vcc, 0x200, v17
	v_addc_co_u32_e32 v18, vcc, 0, v18, vcc
	v_cmp_ge_i64_e64 s[0:1], v[9:10], v[3:4]
	v_add_co_u32_e32 v19, vcc, 0x100, v19
	v_addc_co_u32_e32 v20, vcc, 0, v20, vcc
	s_orn2_b64 s[0:1], s[0:1], exec
	s_branch .LBB5_25
.LBB5_32:                               ;   in Loop: Header=BB5_13 Depth=1
	s_or_b64 exec, exec, s[20:21]
.LBB5_33:                               ;   in Loop: Header=BB5_13 Depth=1
	s_or_b64 exec, exec, s[10:11]
	s_waitcnt lgkmcnt(0)
	ds_read_u8 v13, v38
	s_waitcnt lgkmcnt(0)
	v_and_b32_e32 v14, 1, v13
	v_cmp_eq_u32_e64 s[0:1], 1, v14
	v_cmp_ne_u16_e32 vcc, 0, v13
	s_and_saveexec_b64 s[10:11], s[0:1]
	s_cbranch_execz .LBB5_12
; %bb.34:                               ;   in Loop: Header=BB5_13 Depth=1
	v_lshlrev_b64 v[13:14], 2, v[5:6]
	v_mov_b32_e32 v17, s7
	v_add_co_u32_e64 v13, s[0:1], s6, v13
	v_and_b32_e32 v18, vcc_lo, v11
	v_addc_co_u32_e64 v14, s[0:1], v17, v14, s[0:1]
	v_and_b32_e32 v17, vcc_hi, v12
	v_bcnt_u32_b32 v18, v18, 0
	v_bcnt_u32_b32 v17, v17, v18
	ds_read_b32 v18, v36
	v_lshlrev_b32_e32 v17, 2, v17
	v_add_co_u32_e64 v13, s[0:1], v13, v17
	v_addc_co_u32_e64 v14, s[0:1], 0, v14, s[0:1]
	s_waitcnt lgkmcnt(0)
	global_store_dword v[13:14], v18, off offset:-4
	s_branch .LBB5_12
.LBB5_35:
	s_endpgm
	.section	.rodata,"a",@progbits
	.p2align	6, 0x0
	.amdhsa_kernel _ZN9rocsparseL37csrgeam_fill_numeric_multipass_kernelILj256ELj64EllfEEvllNS_24const_host_device_scalarIT3_EEPKT1_PKT2_PKS2_S3_S6_S9_SB_S6_PS2_21rocsparse_index_base_SD_SD_bbb
		.amdhsa_group_segment_fixed_size 1280
		.amdhsa_private_segment_fixed_size 0
		.amdhsa_kernarg_size 112
		.amdhsa_user_sgpr_count 6
		.amdhsa_user_sgpr_private_segment_buffer 1
		.amdhsa_user_sgpr_dispatch_ptr 0
		.amdhsa_user_sgpr_queue_ptr 0
		.amdhsa_user_sgpr_kernarg_segment_ptr 1
		.amdhsa_user_sgpr_dispatch_id 0
		.amdhsa_user_sgpr_flat_scratch_init 0
		.amdhsa_user_sgpr_private_segment_size 0
		.amdhsa_uses_dynamic_stack 0
		.amdhsa_system_sgpr_private_segment_wavefront_offset 0
		.amdhsa_system_sgpr_workgroup_id_x 1
		.amdhsa_system_sgpr_workgroup_id_y 0
		.amdhsa_system_sgpr_workgroup_id_z 0
		.amdhsa_system_sgpr_workgroup_info 0
		.amdhsa_system_vgpr_workitem_id 0
		.amdhsa_next_free_vgpr 39
		.amdhsa_next_free_sgpr 25
		.amdhsa_reserve_vcc 1
		.amdhsa_reserve_flat_scratch 0
		.amdhsa_float_round_mode_32 0
		.amdhsa_float_round_mode_16_64 0
		.amdhsa_float_denorm_mode_32 3
		.amdhsa_float_denorm_mode_16_64 3
		.amdhsa_dx10_clamp 1
		.amdhsa_ieee_mode 1
		.amdhsa_fp16_overflow 0
		.amdhsa_exception_fp_ieee_invalid_op 0
		.amdhsa_exception_fp_denorm_src 0
		.amdhsa_exception_fp_ieee_div_zero 0
		.amdhsa_exception_fp_ieee_overflow 0
		.amdhsa_exception_fp_ieee_underflow 0
		.amdhsa_exception_fp_ieee_inexact 0
		.amdhsa_exception_int_div_zero 0
	.end_amdhsa_kernel
	.section	.text._ZN9rocsparseL37csrgeam_fill_numeric_multipass_kernelILj256ELj64EllfEEvllNS_24const_host_device_scalarIT3_EEPKT1_PKT2_PKS2_S3_S6_S9_SB_S6_PS2_21rocsparse_index_base_SD_SD_bbb,"axG",@progbits,_ZN9rocsparseL37csrgeam_fill_numeric_multipass_kernelILj256ELj64EllfEEvllNS_24const_host_device_scalarIT3_EEPKT1_PKT2_PKS2_S3_S6_S9_SB_S6_PS2_21rocsparse_index_base_SD_SD_bbb,comdat
.Lfunc_end5:
	.size	_ZN9rocsparseL37csrgeam_fill_numeric_multipass_kernelILj256ELj64EllfEEvllNS_24const_host_device_scalarIT3_EEPKT1_PKT2_PKS2_S3_S6_S9_SB_S6_PS2_21rocsparse_index_base_SD_SD_bbb, .Lfunc_end5-_ZN9rocsparseL37csrgeam_fill_numeric_multipass_kernelILj256ELj64EllfEEvllNS_24const_host_device_scalarIT3_EEPKT1_PKT2_PKS2_S3_S6_S9_SB_S6_PS2_21rocsparse_index_base_SD_SD_bbb
                                        ; -- End function
	.set _ZN9rocsparseL37csrgeam_fill_numeric_multipass_kernelILj256ELj64EllfEEvllNS_24const_host_device_scalarIT3_EEPKT1_PKT2_PKS2_S3_S6_S9_SB_S6_PS2_21rocsparse_index_base_SD_SD_bbb.num_vgpr, 39
	.set _ZN9rocsparseL37csrgeam_fill_numeric_multipass_kernelILj256ELj64EllfEEvllNS_24const_host_device_scalarIT3_EEPKT1_PKT2_PKS2_S3_S6_S9_SB_S6_PS2_21rocsparse_index_base_SD_SD_bbb.num_agpr, 0
	.set _ZN9rocsparseL37csrgeam_fill_numeric_multipass_kernelILj256ELj64EllfEEvllNS_24const_host_device_scalarIT3_EEPKT1_PKT2_PKS2_S3_S6_S9_SB_S6_PS2_21rocsparse_index_base_SD_SD_bbb.numbered_sgpr, 25
	.set _ZN9rocsparseL37csrgeam_fill_numeric_multipass_kernelILj256ELj64EllfEEvllNS_24const_host_device_scalarIT3_EEPKT1_PKT2_PKS2_S3_S6_S9_SB_S6_PS2_21rocsparse_index_base_SD_SD_bbb.num_named_barrier, 0
	.set _ZN9rocsparseL37csrgeam_fill_numeric_multipass_kernelILj256ELj64EllfEEvllNS_24const_host_device_scalarIT3_EEPKT1_PKT2_PKS2_S3_S6_S9_SB_S6_PS2_21rocsparse_index_base_SD_SD_bbb.private_seg_size, 0
	.set _ZN9rocsparseL37csrgeam_fill_numeric_multipass_kernelILj256ELj64EllfEEvllNS_24const_host_device_scalarIT3_EEPKT1_PKT2_PKS2_S3_S6_S9_SB_S6_PS2_21rocsparse_index_base_SD_SD_bbb.uses_vcc, 1
	.set _ZN9rocsparseL37csrgeam_fill_numeric_multipass_kernelILj256ELj64EllfEEvllNS_24const_host_device_scalarIT3_EEPKT1_PKT2_PKS2_S3_S6_S9_SB_S6_PS2_21rocsparse_index_base_SD_SD_bbb.uses_flat_scratch, 0
	.set _ZN9rocsparseL37csrgeam_fill_numeric_multipass_kernelILj256ELj64EllfEEvllNS_24const_host_device_scalarIT3_EEPKT1_PKT2_PKS2_S3_S6_S9_SB_S6_PS2_21rocsparse_index_base_SD_SD_bbb.has_dyn_sized_stack, 0
	.set _ZN9rocsparseL37csrgeam_fill_numeric_multipass_kernelILj256ELj64EllfEEvllNS_24const_host_device_scalarIT3_EEPKT1_PKT2_PKS2_S3_S6_S9_SB_S6_PS2_21rocsparse_index_base_SD_SD_bbb.has_recursion, 0
	.set _ZN9rocsparseL37csrgeam_fill_numeric_multipass_kernelILj256ELj64EllfEEvllNS_24const_host_device_scalarIT3_EEPKT1_PKT2_PKS2_S3_S6_S9_SB_S6_PS2_21rocsparse_index_base_SD_SD_bbb.has_indirect_call, 0
	.section	.AMDGPU.csdata,"",@progbits
; Kernel info:
; codeLenInByte = 1780
; TotalNumSgprs: 29
; NumVgprs: 39
; ScratchSize: 0
; MemoryBound: 0
; FloatMode: 240
; IeeeMode: 1
; LDSByteSize: 1280 bytes/workgroup (compile time only)
; SGPRBlocks: 3
; VGPRBlocks: 9
; NumSGPRsForWavesPerEU: 29
; NumVGPRsForWavesPerEU: 39
; Occupancy: 6
; WaveLimiterHint : 1
; COMPUTE_PGM_RSRC2:SCRATCH_EN: 0
; COMPUTE_PGM_RSRC2:USER_SGPR: 6
; COMPUTE_PGM_RSRC2:TRAP_HANDLER: 0
; COMPUTE_PGM_RSRC2:TGID_X_EN: 1
; COMPUTE_PGM_RSRC2:TGID_Y_EN: 0
; COMPUTE_PGM_RSRC2:TGID_Z_EN: 0
; COMPUTE_PGM_RSRC2:TIDIG_COMP_CNT: 0
	.section	.text._ZN9rocsparseL37csrgeam_fill_numeric_multipass_kernelILj256ELj32EiidEEvllNS_24const_host_device_scalarIT3_EEPKT1_PKT2_PKS2_S3_S6_S9_SB_S6_PS2_21rocsparse_index_base_SD_SD_bbb,"axG",@progbits,_ZN9rocsparseL37csrgeam_fill_numeric_multipass_kernelILj256ELj32EiidEEvllNS_24const_host_device_scalarIT3_EEPKT1_PKT2_PKS2_S3_S6_S9_SB_S6_PS2_21rocsparse_index_base_SD_SD_bbb,comdat
	.globl	_ZN9rocsparseL37csrgeam_fill_numeric_multipass_kernelILj256ELj32EiidEEvllNS_24const_host_device_scalarIT3_EEPKT1_PKT2_PKS2_S3_S6_S9_SB_S6_PS2_21rocsparse_index_base_SD_SD_bbb ; -- Begin function _ZN9rocsparseL37csrgeam_fill_numeric_multipass_kernelILj256ELj32EiidEEvllNS_24const_host_device_scalarIT3_EEPKT1_PKT2_PKS2_S3_S6_S9_SB_S6_PS2_21rocsparse_index_base_SD_SD_bbb
	.p2align	8
	.type	_ZN9rocsparseL37csrgeam_fill_numeric_multipass_kernelILj256ELj32EiidEEvllNS_24const_host_device_scalarIT3_EEPKT1_PKT2_PKS2_S3_S6_S9_SB_S6_PS2_21rocsparse_index_base_SD_SD_bbb,@function
_ZN9rocsparseL37csrgeam_fill_numeric_multipass_kernelILj256ELj32EiidEEvllNS_24const_host_device_scalarIT3_EEPKT1_PKT2_PKS2_S3_S6_S9_SB_S6_PS2_21rocsparse_index_base_SD_SD_bbb: ; @_ZN9rocsparseL37csrgeam_fill_numeric_multipass_kernelILj256ELj32EiidEEvllNS_24const_host_device_scalarIT3_EEPKT1_PKT2_PKS2_S3_S6_S9_SB_S6_PS2_21rocsparse_index_base_SD_SD_bbb
; %bb.0:
	s_load_dwordx4 s[8:11], s[4:5], 0x60
	s_load_dwordx2 s[12:13], s[4:5], 0x30
	s_load_dword s7, s[4:5], 0x6c
	s_load_dwordx4 s[0:3], s[4:5], 0x0
	s_load_dwordx2 s[16:17], s[4:5], 0x10
	s_waitcnt lgkmcnt(0)
	s_bitcmp1_b32 s11, 0
	s_cselect_b64 s[18:19], -1, 0
	s_bitcmp1_b32 s7, 16
	s_cselect_b64 s[14:15], -1, 0
	s_xor_b64 s[20:21], s[18:19], -1
	s_or_b64 s[20:21], s[14:15], s[20:21]
	s_and_b64 s[18:19], s[18:19], exec
	s_cselect_b32 s18, s16, 0
	s_cselect_b32 s19, s17, 0
	v_mov_b32_e32 v1, s18
	s_and_b64 vcc, exec, s[20:21]
	v_mov_b32_e32 v2, s19
	s_cbranch_vccnz .LBB6_2
; %bb.1:
	v_mov_b32_e32 v1, s16
	v_mov_b32_e32 v2, s17
	flat_load_dwordx2 v[1:2], v[1:2]
.LBB6_2:
	s_bitcmp1_b32 s7, 8
	s_cselect_b64 s[16:17], -1, 0
	s_xor_b64 s[18:19], s[16:17], -1
	s_or_b64 s[14:15], s[14:15], s[18:19]
	s_and_b64 s[16:17], s[16:17], exec
	s_cselect_b32 s16, s12, 0
	s_cselect_b32 s17, s13, 0
	v_mov_b32_e32 v3, s16
	s_and_b64 vcc, exec, s[14:15]
	v_mov_b32_e32 v4, s17
	s_cbranch_vccnz .LBB6_4
; %bb.3:
	v_mov_b32_e32 v3, s12
	v_mov_b32_e32 v4, s13
	flat_load_dwordx2 v[3:4], v[3:4]
.LBB6_4:
	s_lshl_b32 s6, s6, 3
	v_lshrrev_b32_e32 v5, 5, v0
	s_and_b32 s6, s6, 0x7fffff8
	v_or_b32_e32 v5, s6, v5
	v_mov_b32_e32 v6, 0
	v_cmp_gt_i64_e32 vcc, s[0:1], v[5:6]
	s_and_saveexec_b64 s[0:1], vcc
	s_cbranch_execz .LBB6_35
; %bb.5:
	s_load_dwordx4 s[12:15], s[4:5], 0x18
	s_load_dwordx2 s[0:1], s[4:5], 0x38
	s_load_dwordx2 s[6:7], s[4:5], 0x50
	v_lshlrev_b32_e32 v9, 2, v5
	s_waitcnt lgkmcnt(0)
	global_load_dwordx2 v[7:8], v9, s[12:13]
	global_load_dwordx2 v[5:6], v9, s[0:1]
	global_load_dword v12, v9, s[6:7]
	s_waitcnt vmcnt(0)
	v_cmp_ge_i32_e32 vcc, v7, v8
	s_and_saveexec_b64 s[0:1], vcc
	s_xor_b64 s[0:1], exec, s[0:1]
	s_or_saveexec_b64 s[0:1], s[0:1]
	v_subrev_u32_e32 v9, s8, v7
	v_mov_b32_e32 v7, s2
	s_xor_b64 exec, exec, s[0:1]
	s_cbranch_execz .LBB6_7
; %bb.6:
	v_ashrrev_i32_e32 v10, 31, v9
	v_lshlrev_b64 v[10:11], 2, v[9:10]
	v_mov_b32_e32 v7, s15
	v_add_co_u32_e32 v10, vcc, s14, v10
	v_addc_co_u32_e32 v11, vcc, v7, v11, vcc
	global_load_dword v7, v[10:11], off
	s_waitcnt vmcnt(0)
	v_subrev_u32_e32 v7, s8, v7
.LBB6_7:
	s_or_b64 exec, exec, s[0:1]
	s_load_dwordx2 s[6:7], s[4:5], 0x40
	v_cmp_ge_i32_e32 vcc, v5, v6
	v_mov_b32_e32 v14, s2
	s_and_saveexec_b64 s[0:1], vcc
	s_xor_b64 s[0:1], exec, s[0:1]
; %bb.8:
	v_mov_b32_e32 v14, s2
; %bb.9:
	s_or_saveexec_b64 s[0:1], s[0:1]
	s_load_dwordx2 s[12:13], s[4:5], 0x58
	s_load_dwordx2 s[16:17], s[4:5], 0x48
	;; [unrolled: 1-line block ×3, first 2 shown]
	v_subrev_u32_e32 v10, s9, v5
	v_mov_b32_e32 v5, v14
	s_xor_b64 exec, exec, s[0:1]
	s_cbranch_execz .LBB6_11
; %bb.10:
	v_ashrrev_i32_e32 v11, 31, v10
	v_lshlrev_b64 v[15:16], 2, v[10:11]
	s_waitcnt lgkmcnt(0)
	v_mov_b32_e32 v5, s7
	v_add_co_u32_e32 v15, vcc, s6, v15
	v_addc_co_u32_e32 v16, vcc, v5, v16, vcc
	global_load_dword v5, v[15:16], off
	s_waitcnt vmcnt(0)
	v_subrev_u32_e32 v5, s9, v5
.LBB6_11:
	s_or_b64 exec, exec, s[0:1]
	v_subrev_u32_e32 v17, s8, v8
	v_mbcnt_lo_u32_b32 v8, -1, 0
	v_subrev_u32_e32 v18, s9, v6
	v_and_b32_e32 v6, 31, v0
	v_mbcnt_hi_u32_b32 v8, -1, v8
	v_subrev_u32_e32 v19, s10, v12
	v_min_i32_e32 v12, v5, v7
	v_add_u32_e32 v5, v9, v6
	v_and_b32_e32 v9, 64, v8
	v_and_b32_e32 v11, 0xe0, v0
	v_add_u32_e32 v7, v10, v6
	v_add_u32_e32 v9, 64, v9
	v_xor_b32_e32 v10, 16, v8
	v_or_b32_e32 v15, 0x800, v11
	v_lshlrev_b32_e32 v16, 3, v11
	v_xor_b32_e32 v11, 8, v8
	v_cmp_lt_i32_e32 vcc, v10, v9
	v_xor_b32_e32 v13, 4, v8
	v_cndmask_b32_e32 v10, v8, v10, vcc
	v_cmp_lt_i32_e32 vcc, v11, v9
	v_xor_b32_e32 v24, 2, v8
	v_lshlrev_b32_e32 v21, 2, v10
	v_cndmask_b32_e32 v10, v8, v11, vcc
	v_cmp_lt_i32_e32 vcc, v13, v9
	v_xor_b32_e32 v25, 1, v8
	v_lshlrev_b32_e32 v22, 2, v10
	v_cndmask_b32_e32 v10, v8, v13, vcc
	v_cmp_lt_i32_e32 vcc, v24, v9
	v_lshlrev_b32_e32 v23, 2, v10
	v_cndmask_b32_e32 v10, v8, v24, vcc
	v_cmp_lt_i32_e32 vcc, v25, v9
	v_xor_b32_e32 v20, 31, v6
	v_cndmask_b32_e32 v8, v8, v25, vcc
	v_mov_b32_e32 v9, 0
	v_lshl_or_b32 v0, v6, 3, v16
	v_lshrrev_b32_e64 v20, v20, -1
	v_lshlrev_b32_e32 v24, 2, v10
	v_lshlrev_b32_e32 v25, 2, v8
	s_mov_b64 s[4:5], 0
	v_add_u32_e32 v26, v15, v6
	v_mov_b32_e32 v10, v9
	v_mov_b32_e32 v11, v9
	;; [unrolled: 1-line block ×3, first 2 shown]
	s_branch .LBB6_13
.LBB6_12:                               ;   in Loop: Header=BB6_13 Depth=1
	s_or_b64 exec, exec, s[10:11]
	ds_bpermute_b32 v6, v21, v13
	s_bcnt1_i32_b64 s10, vcc
	v_add_u32_e32 v19, s10, v19
	s_waitcnt lgkmcnt(0)
	v_min_i32_e32 v6, v6, v13
	ds_bpermute_b32 v8, v22, v6
	s_waitcnt lgkmcnt(0)
	v_min_i32_e32 v6, v8, v6
	ds_bpermute_b32 v8, v23, v6
	;; [unrolled: 3-line block ×4, first 2 shown]
	s_waitcnt lgkmcnt(0)
	v_min_i32_e32 v12, v8, v6
	v_ashrrev_i32_e32 v13, 31, v12
	v_cmp_le_i64_e64 s[0:1], s[2:3], v[12:13]
	s_or_b64 s[4:5], s[0:1], s[4:5]
	s_andn2_b64 exec, exec, s[4:5]
	s_cbranch_execz .LBB6_35
.LBB6_13:                               ; =>This Loop Header: Depth=1
                                        ;     Child Loop BB6_16 Depth 2
                                        ;     Child Loop BB6_26 Depth 2
	v_cmp_lt_i32_e32 vcc, v5, v17
	v_mov_b32_e32 v13, v14
	ds_write_b8 v26, v9
	ds_write_b64 v0, v[10:11]
	s_waitcnt lgkmcnt(0)
	s_and_saveexec_b64 s[10:11], vcc
	s_cbranch_execz .LBB6_23
; %bb.14:                               ;   in Loop: Header=BB6_13 Depth=1
	s_mov_b64 s[20:21], 0
	v_mov_b32_e32 v13, v14
	s_branch .LBB6_16
.LBB6_15:                               ;   in Loop: Header=BB6_16 Depth=2
	s_or_b64 exec, exec, s[22:23]
	s_and_b64 s[0:1], exec, s[0:1]
	s_or_b64 s[20:21], s[0:1], s[20:21]
	s_andn2_b64 exec, exec, s[20:21]
	s_cbranch_execz .LBB6_22
.LBB6_16:                               ;   Parent Loop BB6_13 Depth=1
                                        ; =>  This Inner Loop Header: Depth=2
	v_ashrrev_i32_e32 v6, 31, v5
	v_lshlrev_b64 v[28:29], 2, v[5:6]
	v_mov_b32_e32 v8, s15
	v_add_co_u32_e32 v28, vcc, s14, v28
	v_addc_co_u32_e32 v29, vcc, v8, v29, vcc
	global_load_dword v8, v[28:29], off
	s_waitcnt vmcnt(0)
	v_subrev_u32_e32 v28, s8, v8
	v_sub_u32_e32 v8, v28, v12
	v_cmp_gt_u32_e32 vcc, 32, v8
	v_cmp_lt_u32_e64 s[0:1], 31, v8
	s_and_saveexec_b64 s[22:23], s[0:1]
	s_xor_b64 s[0:1], exec, s[22:23]
	s_cbranch_execnz .LBB6_19
; %bb.17:                               ;   in Loop: Header=BB6_16 Depth=2
	s_andn2_saveexec_b64 s[22:23], s[0:1]
	s_cbranch_execnz .LBB6_20
.LBB6_18:                               ;   in Loop: Header=BB6_16 Depth=2
	s_or_b64 exec, exec, s[22:23]
	s_mov_b64 s[0:1], -1
	s_and_saveexec_b64 s[22:23], vcc
	s_cbranch_execz .LBB6_15
	s_branch .LBB6_21
.LBB6_19:                               ;   in Loop: Header=BB6_16 Depth=2
	v_min_i32_e32 v13, v28, v13
                                        ; implicit-def: $vgpr8
	s_andn2_saveexec_b64 s[22:23], s[0:1]
	s_cbranch_execz .LBB6_18
.LBB6_20:                               ;   in Loop: Header=BB6_16 Depth=2
	v_lshlrev_b64 v[28:29], 3, v[5:6]
	v_mov_b32_e32 v6, s19
	v_add_co_u32_e64 v28, s[0:1], s18, v28
	v_addc_co_u32_e64 v29, s[0:1], v6, v29, s[0:1]
	global_load_dwordx2 v[28:29], v[28:29], off
	v_add_u32_e32 v6, v15, v8
	ds_write_b8 v6, v27
	v_lshl_add_u32 v6, v8, 3, v16
	s_waitcnt vmcnt(0)
	v_mul_f64 v[28:29], v[1:2], v[28:29]
	ds_write_b64 v6, v[28:29]
	s_or_b64 exec, exec, s[22:23]
	s_mov_b64 s[0:1], -1
	s_and_saveexec_b64 s[22:23], vcc
	s_cbranch_execz .LBB6_15
.LBB6_21:                               ;   in Loop: Header=BB6_16 Depth=2
	v_add_u32_e32 v5, 32, v5
	v_cmp_ge_i32_e32 vcc, v5, v17
	s_orn2_b64 s[0:1], vcc, exec
	s_branch .LBB6_15
.LBB6_22:                               ;   in Loop: Header=BB6_13 Depth=1
	s_or_b64 exec, exec, s[20:21]
.LBB6_23:                               ;   in Loop: Header=BB6_13 Depth=1
	s_or_b64 exec, exec, s[10:11]
	v_cmp_lt_i32_e32 vcc, v7, v18
	s_waitcnt lgkmcnt(0)
	s_and_saveexec_b64 s[10:11], vcc
	s_cbranch_execz .LBB6_33
; %bb.24:                               ;   in Loop: Header=BB6_13 Depth=1
	s_mov_b64 s[20:21], 0
	s_branch .LBB6_26
.LBB6_25:                               ;   in Loop: Header=BB6_26 Depth=2
	s_or_b64 exec, exec, s[22:23]
	s_and_b64 s[0:1], exec, s[0:1]
	s_or_b64 s[20:21], s[0:1], s[20:21]
	s_andn2_b64 exec, exec, s[20:21]
	s_cbranch_execz .LBB6_32
.LBB6_26:                               ;   Parent Loop BB6_13 Depth=1
                                        ; =>  This Inner Loop Header: Depth=2
	v_ashrrev_i32_e32 v8, 31, v7
	v_lshlrev_b64 v[28:29], 2, v[7:8]
	v_mov_b32_e32 v6, s7
	v_add_co_u32_e32 v28, vcc, s6, v28
	v_addc_co_u32_e32 v29, vcc, v6, v29, vcc
	global_load_dword v6, v[28:29], off
	s_waitcnt vmcnt(0)
	v_subrev_u32_e32 v28, s9, v6
	v_sub_u32_e32 v6, v28, v12
	v_cmp_gt_u32_e32 vcc, 32, v6
	v_cmp_lt_u32_e64 s[0:1], 31, v6
	s_and_saveexec_b64 s[22:23], s[0:1]
	s_xor_b64 s[0:1], exec, s[22:23]
	s_cbranch_execnz .LBB6_29
; %bb.27:                               ;   in Loop: Header=BB6_26 Depth=2
	s_andn2_saveexec_b64 s[22:23], s[0:1]
	s_cbranch_execnz .LBB6_30
.LBB6_28:                               ;   in Loop: Header=BB6_26 Depth=2
	s_or_b64 exec, exec, s[22:23]
	s_mov_b64 s[0:1], -1
	s_and_saveexec_b64 s[22:23], vcc
	s_cbranch_execz .LBB6_25
	s_branch .LBB6_31
.LBB6_29:                               ;   in Loop: Header=BB6_26 Depth=2
	v_min_i32_e32 v13, v28, v13
                                        ; implicit-def: $vgpr6
	s_andn2_saveexec_b64 s[22:23], s[0:1]
	s_cbranch_execz .LBB6_28
.LBB6_30:                               ;   in Loop: Header=BB6_26 Depth=2
	v_lshlrev_b64 v[28:29], 3, v[7:8]
	v_mov_b32_e32 v8, s17
	v_add_co_u32_e64 v28, s[0:1], s16, v28
	v_addc_co_u32_e64 v29, s[0:1], v8, v29, s[0:1]
	global_load_dwordx2 v[28:29], v[28:29], off
	v_lshl_add_u32 v8, v6, 3, v16
	ds_read_b64 v[30:31], v8
	v_add_u32_e32 v6, v15, v6
	s_waitcnt vmcnt(0) lgkmcnt(0)
	v_fma_f64 v[28:29], v[3:4], v[28:29], v[30:31]
	ds_write_b8 v6, v27
	ds_write_b64 v8, v[28:29]
	s_or_b64 exec, exec, s[22:23]
	s_mov_b64 s[0:1], -1
	s_and_saveexec_b64 s[22:23], vcc
	s_cbranch_execz .LBB6_25
.LBB6_31:                               ;   in Loop: Header=BB6_26 Depth=2
	v_add_u32_e32 v7, 32, v7
	v_cmp_ge_i32_e32 vcc, v7, v18
	s_orn2_b64 s[0:1], vcc, exec
	s_branch .LBB6_25
.LBB6_32:                               ;   in Loop: Header=BB6_13 Depth=1
	s_or_b64 exec, exec, s[20:21]
.LBB6_33:                               ;   in Loop: Header=BB6_13 Depth=1
	s_or_b64 exec, exec, s[10:11]
	s_waitcnt lgkmcnt(0)
	ds_read_u8 v6, v26
	s_waitcnt lgkmcnt(0)
	v_and_b32_e32 v8, 1, v6
	v_cmp_eq_u32_e64 s[0:1], 1, v8
	v_cmp_ne_u16_e32 vcc, 0, v6
	s_and_saveexec_b64 s[10:11], s[0:1]
	s_cbranch_execz .LBB6_12
; %bb.34:                               ;   in Loop: Header=BB6_13 Depth=1
	v_and_b32_e32 v6, vcc_lo, v20
	v_bcnt_u32_b32 v6, v6, 0
	v_add3_u32 v8, v19, v6, -1
	ds_read_b64 v[30:31], v0
	v_lshlrev_b64 v[28:29], 3, v[8:9]
	v_mov_b32_e32 v6, s13
	v_add_co_u32_e64 v28, s[0:1], s12, v28
	v_addc_co_u32_e64 v29, s[0:1], v6, v29, s[0:1]
	s_waitcnt lgkmcnt(0)
	global_store_dwordx2 v[28:29], v[30:31], off
	s_branch .LBB6_12
.LBB6_35:
	s_endpgm
	.section	.rodata,"a",@progbits
	.p2align	6, 0x0
	.amdhsa_kernel _ZN9rocsparseL37csrgeam_fill_numeric_multipass_kernelILj256ELj32EiidEEvllNS_24const_host_device_scalarIT3_EEPKT1_PKT2_PKS2_S3_S6_S9_SB_S6_PS2_21rocsparse_index_base_SD_SD_bbb
		.amdhsa_group_segment_fixed_size 2304
		.amdhsa_private_segment_fixed_size 0
		.amdhsa_kernarg_size 112
		.amdhsa_user_sgpr_count 6
		.amdhsa_user_sgpr_private_segment_buffer 1
		.amdhsa_user_sgpr_dispatch_ptr 0
		.amdhsa_user_sgpr_queue_ptr 0
		.amdhsa_user_sgpr_kernarg_segment_ptr 1
		.amdhsa_user_sgpr_dispatch_id 0
		.amdhsa_user_sgpr_flat_scratch_init 0
		.amdhsa_user_sgpr_private_segment_size 0
		.amdhsa_uses_dynamic_stack 0
		.amdhsa_system_sgpr_private_segment_wavefront_offset 0
		.amdhsa_system_sgpr_workgroup_id_x 1
		.amdhsa_system_sgpr_workgroup_id_y 0
		.amdhsa_system_sgpr_workgroup_id_z 0
		.amdhsa_system_sgpr_workgroup_info 0
		.amdhsa_system_vgpr_workitem_id 0
		.amdhsa_next_free_vgpr 32
		.amdhsa_next_free_sgpr 24
		.amdhsa_reserve_vcc 1
		.amdhsa_reserve_flat_scratch 0
		.amdhsa_float_round_mode_32 0
		.amdhsa_float_round_mode_16_64 0
		.amdhsa_float_denorm_mode_32 3
		.amdhsa_float_denorm_mode_16_64 3
		.amdhsa_dx10_clamp 1
		.amdhsa_ieee_mode 1
		.amdhsa_fp16_overflow 0
		.amdhsa_exception_fp_ieee_invalid_op 0
		.amdhsa_exception_fp_denorm_src 0
		.amdhsa_exception_fp_ieee_div_zero 0
		.amdhsa_exception_fp_ieee_overflow 0
		.amdhsa_exception_fp_ieee_underflow 0
		.amdhsa_exception_fp_ieee_inexact 0
		.amdhsa_exception_int_div_zero 0
	.end_amdhsa_kernel
	.section	.text._ZN9rocsparseL37csrgeam_fill_numeric_multipass_kernelILj256ELj32EiidEEvllNS_24const_host_device_scalarIT3_EEPKT1_PKT2_PKS2_S3_S6_S9_SB_S6_PS2_21rocsparse_index_base_SD_SD_bbb,"axG",@progbits,_ZN9rocsparseL37csrgeam_fill_numeric_multipass_kernelILj256ELj32EiidEEvllNS_24const_host_device_scalarIT3_EEPKT1_PKT2_PKS2_S3_S6_S9_SB_S6_PS2_21rocsparse_index_base_SD_SD_bbb,comdat
.Lfunc_end6:
	.size	_ZN9rocsparseL37csrgeam_fill_numeric_multipass_kernelILj256ELj32EiidEEvllNS_24const_host_device_scalarIT3_EEPKT1_PKT2_PKS2_S3_S6_S9_SB_S6_PS2_21rocsparse_index_base_SD_SD_bbb, .Lfunc_end6-_ZN9rocsparseL37csrgeam_fill_numeric_multipass_kernelILj256ELj32EiidEEvllNS_24const_host_device_scalarIT3_EEPKT1_PKT2_PKS2_S3_S6_S9_SB_S6_PS2_21rocsparse_index_base_SD_SD_bbb
                                        ; -- End function
	.set _ZN9rocsparseL37csrgeam_fill_numeric_multipass_kernelILj256ELj32EiidEEvllNS_24const_host_device_scalarIT3_EEPKT1_PKT2_PKS2_S3_S6_S9_SB_S6_PS2_21rocsparse_index_base_SD_SD_bbb.num_vgpr, 32
	.set _ZN9rocsparseL37csrgeam_fill_numeric_multipass_kernelILj256ELj32EiidEEvllNS_24const_host_device_scalarIT3_EEPKT1_PKT2_PKS2_S3_S6_S9_SB_S6_PS2_21rocsparse_index_base_SD_SD_bbb.num_agpr, 0
	.set _ZN9rocsparseL37csrgeam_fill_numeric_multipass_kernelILj256ELj32EiidEEvllNS_24const_host_device_scalarIT3_EEPKT1_PKT2_PKS2_S3_S6_S9_SB_S6_PS2_21rocsparse_index_base_SD_SD_bbb.numbered_sgpr, 24
	.set _ZN9rocsparseL37csrgeam_fill_numeric_multipass_kernelILj256ELj32EiidEEvllNS_24const_host_device_scalarIT3_EEPKT1_PKT2_PKS2_S3_S6_S9_SB_S6_PS2_21rocsparse_index_base_SD_SD_bbb.num_named_barrier, 0
	.set _ZN9rocsparseL37csrgeam_fill_numeric_multipass_kernelILj256ELj32EiidEEvllNS_24const_host_device_scalarIT3_EEPKT1_PKT2_PKS2_S3_S6_S9_SB_S6_PS2_21rocsparse_index_base_SD_SD_bbb.private_seg_size, 0
	.set _ZN9rocsparseL37csrgeam_fill_numeric_multipass_kernelILj256ELj32EiidEEvllNS_24const_host_device_scalarIT3_EEPKT1_PKT2_PKS2_S3_S6_S9_SB_S6_PS2_21rocsparse_index_base_SD_SD_bbb.uses_vcc, 1
	.set _ZN9rocsparseL37csrgeam_fill_numeric_multipass_kernelILj256ELj32EiidEEvllNS_24const_host_device_scalarIT3_EEPKT1_PKT2_PKS2_S3_S6_S9_SB_S6_PS2_21rocsparse_index_base_SD_SD_bbb.uses_flat_scratch, 0
	.set _ZN9rocsparseL37csrgeam_fill_numeric_multipass_kernelILj256ELj32EiidEEvllNS_24const_host_device_scalarIT3_EEPKT1_PKT2_PKS2_S3_S6_S9_SB_S6_PS2_21rocsparse_index_base_SD_SD_bbb.has_dyn_sized_stack, 0
	.set _ZN9rocsparseL37csrgeam_fill_numeric_multipass_kernelILj256ELj32EiidEEvllNS_24const_host_device_scalarIT3_EEPKT1_PKT2_PKS2_S3_S6_S9_SB_S6_PS2_21rocsparse_index_base_SD_SD_bbb.has_recursion, 0
	.set _ZN9rocsparseL37csrgeam_fill_numeric_multipass_kernelILj256ELj32EiidEEvllNS_24const_host_device_scalarIT3_EEPKT1_PKT2_PKS2_S3_S6_S9_SB_S6_PS2_21rocsparse_index_base_SD_SD_bbb.has_indirect_call, 0
	.section	.AMDGPU.csdata,"",@progbits
; Kernel info:
; codeLenInByte = 1464
; TotalNumSgprs: 28
; NumVgprs: 32
; ScratchSize: 0
; MemoryBound: 0
; FloatMode: 240
; IeeeMode: 1
; LDSByteSize: 2304 bytes/workgroup (compile time only)
; SGPRBlocks: 3
; VGPRBlocks: 7
; NumSGPRsForWavesPerEU: 28
; NumVGPRsForWavesPerEU: 32
; Occupancy: 8
; WaveLimiterHint : 1
; COMPUTE_PGM_RSRC2:SCRATCH_EN: 0
; COMPUTE_PGM_RSRC2:USER_SGPR: 6
; COMPUTE_PGM_RSRC2:TRAP_HANDLER: 0
; COMPUTE_PGM_RSRC2:TGID_X_EN: 1
; COMPUTE_PGM_RSRC2:TGID_Y_EN: 0
; COMPUTE_PGM_RSRC2:TGID_Z_EN: 0
; COMPUTE_PGM_RSRC2:TIDIG_COMP_CNT: 0
	.section	.text._ZN9rocsparseL37csrgeam_fill_numeric_multipass_kernelILj256ELj64EiidEEvllNS_24const_host_device_scalarIT3_EEPKT1_PKT2_PKS2_S3_S6_S9_SB_S6_PS2_21rocsparse_index_base_SD_SD_bbb,"axG",@progbits,_ZN9rocsparseL37csrgeam_fill_numeric_multipass_kernelILj256ELj64EiidEEvllNS_24const_host_device_scalarIT3_EEPKT1_PKT2_PKS2_S3_S6_S9_SB_S6_PS2_21rocsparse_index_base_SD_SD_bbb,comdat
	.globl	_ZN9rocsparseL37csrgeam_fill_numeric_multipass_kernelILj256ELj64EiidEEvllNS_24const_host_device_scalarIT3_EEPKT1_PKT2_PKS2_S3_S6_S9_SB_S6_PS2_21rocsparse_index_base_SD_SD_bbb ; -- Begin function _ZN9rocsparseL37csrgeam_fill_numeric_multipass_kernelILj256ELj64EiidEEvllNS_24const_host_device_scalarIT3_EEPKT1_PKT2_PKS2_S3_S6_S9_SB_S6_PS2_21rocsparse_index_base_SD_SD_bbb
	.p2align	8
	.type	_ZN9rocsparseL37csrgeam_fill_numeric_multipass_kernelILj256ELj64EiidEEvllNS_24const_host_device_scalarIT3_EEPKT1_PKT2_PKS2_S3_S6_S9_SB_S6_PS2_21rocsparse_index_base_SD_SD_bbb,@function
_ZN9rocsparseL37csrgeam_fill_numeric_multipass_kernelILj256ELj64EiidEEvllNS_24const_host_device_scalarIT3_EEPKT1_PKT2_PKS2_S3_S6_S9_SB_S6_PS2_21rocsparse_index_base_SD_SD_bbb: ; @_ZN9rocsparseL37csrgeam_fill_numeric_multipass_kernelILj256ELj64EiidEEvllNS_24const_host_device_scalarIT3_EEPKT1_PKT2_PKS2_S3_S6_S9_SB_S6_PS2_21rocsparse_index_base_SD_SD_bbb
; %bb.0:
	s_load_dwordx4 s[8:11], s[4:5], 0x60
	s_load_dwordx2 s[12:13], s[4:5], 0x30
	s_load_dword s7, s[4:5], 0x6c
	s_load_dwordx4 s[0:3], s[4:5], 0x0
	s_load_dwordx2 s[16:17], s[4:5], 0x10
	s_waitcnt lgkmcnt(0)
	s_bitcmp1_b32 s11, 0
	s_cselect_b64 s[18:19], -1, 0
	s_bitcmp1_b32 s7, 16
	s_cselect_b64 s[14:15], -1, 0
	s_xor_b64 s[20:21], s[18:19], -1
	s_or_b64 s[20:21], s[14:15], s[20:21]
	s_and_b64 s[18:19], s[18:19], exec
	s_cselect_b32 s18, s16, 0
	s_cselect_b32 s19, s17, 0
	v_mov_b32_e32 v1, s18
	s_and_b64 vcc, exec, s[20:21]
	v_mov_b32_e32 v2, s19
	s_cbranch_vccnz .LBB7_2
; %bb.1:
	v_mov_b32_e32 v1, s16
	v_mov_b32_e32 v2, s17
	flat_load_dwordx2 v[1:2], v[1:2]
.LBB7_2:
	s_bitcmp1_b32 s7, 8
	s_cselect_b64 s[16:17], -1, 0
	s_xor_b64 s[18:19], s[16:17], -1
	s_or_b64 s[14:15], s[14:15], s[18:19]
	s_and_b64 s[16:17], s[16:17], exec
	s_cselect_b32 s16, s12, 0
	s_cselect_b32 s17, s13, 0
	v_mov_b32_e32 v3, s16
	s_and_b64 vcc, exec, s[14:15]
	v_mov_b32_e32 v4, s17
	s_cbranch_vccnz .LBB7_4
; %bb.3:
	v_mov_b32_e32 v3, s12
	v_mov_b32_e32 v4, s13
	flat_load_dwordx2 v[3:4], v[3:4]
.LBB7_4:
	s_lshl_b32 s6, s6, 2
	v_lshrrev_b32_e32 v5, 6, v0
	s_and_b32 s6, s6, 0x3fffffc
	v_or_b32_e32 v5, s6, v5
	v_mov_b32_e32 v6, 0
	v_cmp_gt_i64_e32 vcc, s[0:1], v[5:6]
	s_and_saveexec_b64 s[0:1], vcc
	s_cbranch_execz .LBB7_35
; %bb.5:
	s_load_dwordx4 s[12:15], s[4:5], 0x18
	s_load_dwordx2 s[0:1], s[4:5], 0x38
	s_load_dwordx2 s[6:7], s[4:5], 0x50
	v_lshlrev_b32_e32 v10, 2, v5
	s_waitcnt lgkmcnt(0)
	global_load_dwordx2 v[7:8], v10, s[12:13]
	global_load_dwordx2 v[5:6], v10, s[0:1]
	global_load_dword v9, v10, s[6:7]
	s_waitcnt vmcnt(0)
	v_cmp_ge_i32_e32 vcc, v7, v8
	s_and_saveexec_b64 s[0:1], vcc
	s_xor_b64 s[0:1], exec, s[0:1]
	s_or_saveexec_b64 s[0:1], s[0:1]
	v_subrev_u32_e32 v10, s8, v7
	v_mov_b32_e32 v7, s2
	s_xor_b64 exec, exec, s[0:1]
	s_cbranch_execz .LBB7_7
; %bb.6:
	v_ashrrev_i32_e32 v11, 31, v10
	v_lshlrev_b64 v[11:12], 2, v[10:11]
	v_mov_b32_e32 v7, s15
	v_add_co_u32_e32 v11, vcc, s14, v11
	v_addc_co_u32_e32 v12, vcc, v7, v12, vcc
	global_load_dword v7, v[11:12], off
	s_waitcnt vmcnt(0)
	v_subrev_u32_e32 v7, s8, v7
.LBB7_7:
	s_or_b64 exec, exec, s[0:1]
	s_load_dwordx2 s[6:7], s[4:5], 0x40
	v_cmp_ge_i32_e32 vcc, v5, v6
	v_mov_b32_e32 v15, s2
	s_and_saveexec_b64 s[0:1], vcc
	s_xor_b64 s[0:1], exec, s[0:1]
; %bb.8:
	v_mov_b32_e32 v15, s2
; %bb.9:
	s_or_saveexec_b64 s[0:1], s[0:1]
	s_load_dwordx2 s[12:13], s[4:5], 0x58
	s_load_dwordx2 s[16:17], s[4:5], 0x48
	;; [unrolled: 1-line block ×3, first 2 shown]
	v_subrev_u32_e32 v11, s9, v5
	v_mov_b32_e32 v5, v15
	s_xor_b64 exec, exec, s[0:1]
	s_cbranch_execz .LBB7_11
; %bb.10:
	v_ashrrev_i32_e32 v12, 31, v11
	v_lshlrev_b64 v[12:13], 2, v[11:12]
	s_waitcnt lgkmcnt(0)
	v_mov_b32_e32 v5, s7
	v_add_co_u32_e32 v12, vcc, s6, v12
	v_addc_co_u32_e32 v13, vcc, v5, v13, vcc
	global_load_dword v5, v[12:13], off
	s_waitcnt vmcnt(0)
	v_subrev_u32_e32 v5, s9, v5
.LBB7_11:
	s_or_b64 exec, exec, s[0:1]
	v_and_b32_e32 v12, 0xc0, v0
	v_subrev_u32_e32 v19, s9, v6
	v_and_b32_e32 v6, 63, v0
	v_mbcnt_lo_u32_b32 v0, -1, 0
	v_subrev_u32_e32 v18, s8, v8
	v_mbcnt_hi_u32_b32 v8, -1, v0
	v_and_b32_e32 v0, 64, v8
	v_subrev_u32_e32 v20, s10, v9
	v_min_i32_e32 v9, v5, v7
	v_add_u32_e32 v5, v10, v6
	v_add_u32_e32 v7, v11, v6
	;; [unrolled: 1-line block ×3, first 2 shown]
	v_xor_b32_e32 v11, 32, v8
	v_or_b32_e32 v16, 0x800, v12
	v_lshlrev_b32_e32 v17, 3, v12
	v_xor_b32_e32 v12, 16, v8
	v_cmp_lt_i32_e32 vcc, v11, v10
	v_xor_b32_e32 v13, 8, v8
	v_cndmask_b32_e32 v11, v8, v11, vcc
	v_cmp_lt_i32_e32 vcc, v12, v10
	v_xor_b32_e32 v14, 4, v8
	v_cndmask_b32_e32 v12, v8, v12, vcc
	;; [unrolled: 3-line block ×4, first 2 shown]
	v_cmp_lt_i32_e32 vcc, v21, v10
	v_cndmask_b32_e32 v25, v8, v21, vcc
	v_cmp_lt_i32_e32 vcc, v22, v10
	v_xor_b32_e32 v10, 63, v6
	v_cndmask_b32_e32 v8, v8, v22, vcc
	v_lshlrev_b32_e32 v21, 2, v11
	v_lshlrev_b32_e32 v22, 2, v12
	v_lshrrev_b64 v[11:12], v10, -1
	v_lshl_or_b32 v0, v6, 3, v17
	v_lshlrev_b32_e32 v23, 2, v13
	v_lshlrev_b32_e32 v24, 2, v14
	;; [unrolled: 1-line block ×4, first 2 shown]
	s_mov_b64 s[4:5], 0
	v_add_u32_e32 v27, v16, v6
	v_mov_b32_e32 v28, 1
	v_mov_b32_e32 v13, 0
	s_branch .LBB7_13
.LBB7_12:                               ;   in Loop: Header=BB7_13 Depth=1
	s_or_b64 exec, exec, s[10:11]
	ds_bpermute_b32 v6, v21, v10
	s_bcnt1_i32_b64 s10, vcc
	v_add_u32_e32 v20, s10, v20
	s_waitcnt lgkmcnt(0)
	v_min_i32_e32 v6, v6, v10
	ds_bpermute_b32 v8, v22, v6
	s_waitcnt lgkmcnt(0)
	v_min_i32_e32 v6, v8, v6
	ds_bpermute_b32 v8, v23, v6
	;; [unrolled: 3-line block ×5, first 2 shown]
	s_waitcnt lgkmcnt(0)
	v_min_i32_e32 v9, v8, v6
	v_ashrrev_i32_e32 v10, 31, v9
	v_cmp_le_i64_e64 s[0:1], s[2:3], v[9:10]
	s_or_b64 s[4:5], s[0:1], s[4:5]
	s_andn2_b64 exec, exec, s[4:5]
	s_cbranch_execz .LBB7_35
.LBB7_13:                               ; =>This Loop Header: Depth=1
                                        ;     Child Loop BB7_16 Depth 2
                                        ;     Child Loop BB7_26 Depth 2
	v_mov_b32_e32 v14, v13
	v_cmp_lt_i32_e32 vcc, v5, v18
	v_mov_b32_e32 v10, v15
	ds_write_b8 v27, v13
	ds_write_b64 v0, v[13:14]
	s_waitcnt lgkmcnt(0)
	s_and_saveexec_b64 s[10:11], vcc
	s_cbranch_execz .LBB7_23
; %bb.14:                               ;   in Loop: Header=BB7_13 Depth=1
	s_mov_b64 s[20:21], 0
	v_mov_b32_e32 v10, v15
	s_branch .LBB7_16
.LBB7_15:                               ;   in Loop: Header=BB7_16 Depth=2
	s_or_b64 exec, exec, s[22:23]
	s_and_b64 s[0:1], exec, s[0:1]
	s_or_b64 s[20:21], s[0:1], s[20:21]
	s_andn2_b64 exec, exec, s[20:21]
	s_cbranch_execz .LBB7_22
.LBB7_16:                               ;   Parent Loop BB7_13 Depth=1
                                        ; =>  This Inner Loop Header: Depth=2
	v_ashrrev_i32_e32 v6, 31, v5
	v_lshlrev_b64 v[29:30], 2, v[5:6]
	v_mov_b32_e32 v8, s15
	v_add_co_u32_e32 v29, vcc, s14, v29
	v_addc_co_u32_e32 v30, vcc, v8, v30, vcc
	global_load_dword v8, v[29:30], off
	s_waitcnt vmcnt(0)
	v_subrev_u32_e32 v14, s8, v8
	v_sub_u32_e32 v8, v14, v9
	v_cmp_gt_u32_e32 vcc, 64, v8
	v_cmp_lt_u32_e64 s[0:1], 63, v8
	s_and_saveexec_b64 s[22:23], s[0:1]
	s_xor_b64 s[0:1], exec, s[22:23]
	s_cbranch_execnz .LBB7_19
; %bb.17:                               ;   in Loop: Header=BB7_16 Depth=2
	s_andn2_saveexec_b64 s[22:23], s[0:1]
	s_cbranch_execnz .LBB7_20
.LBB7_18:                               ;   in Loop: Header=BB7_16 Depth=2
	s_or_b64 exec, exec, s[22:23]
	s_mov_b64 s[0:1], -1
	s_and_saveexec_b64 s[22:23], vcc
	s_cbranch_execz .LBB7_15
	s_branch .LBB7_21
.LBB7_19:                               ;   in Loop: Header=BB7_16 Depth=2
	v_min_i32_e32 v10, v14, v10
                                        ; implicit-def: $vgpr8
	s_andn2_saveexec_b64 s[22:23], s[0:1]
	s_cbranch_execz .LBB7_18
.LBB7_20:                               ;   in Loop: Header=BB7_16 Depth=2
	v_lshlrev_b64 v[29:30], 3, v[5:6]
	v_mov_b32_e32 v6, s19
	v_add_co_u32_e64 v29, s[0:1], s18, v29
	v_addc_co_u32_e64 v30, s[0:1], v6, v30, s[0:1]
	global_load_dwordx2 v[29:30], v[29:30], off
	v_add_u32_e32 v6, v16, v8
	ds_write_b8 v6, v28
	v_lshl_add_u32 v6, v8, 3, v17
	s_waitcnt vmcnt(0)
	v_mul_f64 v[29:30], v[1:2], v[29:30]
	ds_write_b64 v6, v[29:30]
	s_or_b64 exec, exec, s[22:23]
	s_mov_b64 s[0:1], -1
	s_and_saveexec_b64 s[22:23], vcc
	s_cbranch_execz .LBB7_15
.LBB7_21:                               ;   in Loop: Header=BB7_16 Depth=2
	v_add_u32_e32 v5, 64, v5
	v_cmp_ge_i32_e32 vcc, v5, v18
	s_orn2_b64 s[0:1], vcc, exec
	s_branch .LBB7_15
.LBB7_22:                               ;   in Loop: Header=BB7_13 Depth=1
	s_or_b64 exec, exec, s[20:21]
.LBB7_23:                               ;   in Loop: Header=BB7_13 Depth=1
	s_or_b64 exec, exec, s[10:11]
	v_cmp_lt_i32_e32 vcc, v7, v19
	s_waitcnt lgkmcnt(0)
	s_and_saveexec_b64 s[10:11], vcc
	s_cbranch_execz .LBB7_33
; %bb.24:                               ;   in Loop: Header=BB7_13 Depth=1
	s_mov_b64 s[20:21], 0
	s_branch .LBB7_26
.LBB7_25:                               ;   in Loop: Header=BB7_26 Depth=2
	s_or_b64 exec, exec, s[22:23]
	s_and_b64 s[0:1], exec, s[0:1]
	s_or_b64 s[20:21], s[0:1], s[20:21]
	s_andn2_b64 exec, exec, s[20:21]
	s_cbranch_execz .LBB7_32
.LBB7_26:                               ;   Parent Loop BB7_13 Depth=1
                                        ; =>  This Inner Loop Header: Depth=2
	v_ashrrev_i32_e32 v8, 31, v7
	v_lshlrev_b64 v[29:30], 2, v[7:8]
	v_mov_b32_e32 v6, s7
	v_add_co_u32_e32 v29, vcc, s6, v29
	v_addc_co_u32_e32 v30, vcc, v6, v30, vcc
	global_load_dword v6, v[29:30], off
	s_waitcnt vmcnt(0)
	v_subrev_u32_e32 v14, s9, v6
	v_sub_u32_e32 v6, v14, v9
	v_cmp_gt_u32_e32 vcc, 64, v6
	v_cmp_lt_u32_e64 s[0:1], 63, v6
	s_and_saveexec_b64 s[22:23], s[0:1]
	s_xor_b64 s[0:1], exec, s[22:23]
	s_cbranch_execnz .LBB7_29
; %bb.27:                               ;   in Loop: Header=BB7_26 Depth=2
	s_andn2_saveexec_b64 s[22:23], s[0:1]
	s_cbranch_execnz .LBB7_30
.LBB7_28:                               ;   in Loop: Header=BB7_26 Depth=2
	s_or_b64 exec, exec, s[22:23]
	s_mov_b64 s[0:1], -1
	s_and_saveexec_b64 s[22:23], vcc
	s_cbranch_execz .LBB7_25
	s_branch .LBB7_31
.LBB7_29:                               ;   in Loop: Header=BB7_26 Depth=2
	v_min_i32_e32 v10, v14, v10
                                        ; implicit-def: $vgpr6
	s_andn2_saveexec_b64 s[22:23], s[0:1]
	s_cbranch_execz .LBB7_28
.LBB7_30:                               ;   in Loop: Header=BB7_26 Depth=2
	v_lshlrev_b64 v[29:30], 3, v[7:8]
	v_mov_b32_e32 v8, s17
	v_add_co_u32_e64 v29, s[0:1], s16, v29
	v_addc_co_u32_e64 v30, s[0:1], v8, v30, s[0:1]
	global_load_dwordx2 v[29:30], v[29:30], off
	v_lshl_add_u32 v8, v6, 3, v17
	ds_read_b64 v[31:32], v8
	v_add_u32_e32 v6, v16, v6
	s_waitcnt vmcnt(0) lgkmcnt(0)
	v_fma_f64 v[29:30], v[3:4], v[29:30], v[31:32]
	ds_write_b8 v6, v28
	ds_write_b64 v8, v[29:30]
	s_or_b64 exec, exec, s[22:23]
	s_mov_b64 s[0:1], -1
	s_and_saveexec_b64 s[22:23], vcc
	s_cbranch_execz .LBB7_25
.LBB7_31:                               ;   in Loop: Header=BB7_26 Depth=2
	v_add_u32_e32 v7, 64, v7
	v_cmp_ge_i32_e32 vcc, v7, v19
	s_orn2_b64 s[0:1], vcc, exec
	s_branch .LBB7_25
.LBB7_32:                               ;   in Loop: Header=BB7_13 Depth=1
	s_or_b64 exec, exec, s[20:21]
.LBB7_33:                               ;   in Loop: Header=BB7_13 Depth=1
	s_or_b64 exec, exec, s[10:11]
	s_waitcnt lgkmcnt(0)
	ds_read_u8 v6, v27
	s_waitcnt lgkmcnt(0)
	v_and_b32_e32 v8, 1, v6
	v_cmp_eq_u32_e64 s[0:1], 1, v8
	v_cmp_ne_u16_e32 vcc, 0, v6
	s_and_saveexec_b64 s[10:11], s[0:1]
	s_cbranch_execz .LBB7_12
; %bb.34:                               ;   in Loop: Header=BB7_13 Depth=1
	v_and_b32_e32 v8, vcc_lo, v11
	v_and_b32_e32 v6, vcc_hi, v12
	v_bcnt_u32_b32 v8, v8, 0
	v_bcnt_u32_b32 v6, v6, v8
	v_add3_u32 v8, v20, v6, -1
	v_mov_b32_e32 v9, v13
	ds_read_b64 v[29:30], v0
	v_lshlrev_b64 v[8:9], 3, v[8:9]
	v_mov_b32_e32 v6, s13
	v_add_co_u32_e64 v8, s[0:1], s12, v8
	v_addc_co_u32_e64 v9, s[0:1], v6, v9, s[0:1]
	s_waitcnt lgkmcnt(0)
	global_store_dwordx2 v[8:9], v[29:30], off
	s_branch .LBB7_12
.LBB7_35:
	s_endpgm
	.section	.rodata,"a",@progbits
	.p2align	6, 0x0
	.amdhsa_kernel _ZN9rocsparseL37csrgeam_fill_numeric_multipass_kernelILj256ELj64EiidEEvllNS_24const_host_device_scalarIT3_EEPKT1_PKT2_PKS2_S3_S6_S9_SB_S6_PS2_21rocsparse_index_base_SD_SD_bbb
		.amdhsa_group_segment_fixed_size 2304
		.amdhsa_private_segment_fixed_size 0
		.amdhsa_kernarg_size 112
		.amdhsa_user_sgpr_count 6
		.amdhsa_user_sgpr_private_segment_buffer 1
		.amdhsa_user_sgpr_dispatch_ptr 0
		.amdhsa_user_sgpr_queue_ptr 0
		.amdhsa_user_sgpr_kernarg_segment_ptr 1
		.amdhsa_user_sgpr_dispatch_id 0
		.amdhsa_user_sgpr_flat_scratch_init 0
		.amdhsa_user_sgpr_private_segment_size 0
		.amdhsa_uses_dynamic_stack 0
		.amdhsa_system_sgpr_private_segment_wavefront_offset 0
		.amdhsa_system_sgpr_workgroup_id_x 1
		.amdhsa_system_sgpr_workgroup_id_y 0
		.amdhsa_system_sgpr_workgroup_id_z 0
		.amdhsa_system_sgpr_workgroup_info 0
		.amdhsa_system_vgpr_workitem_id 0
		.amdhsa_next_free_vgpr 33
		.amdhsa_next_free_sgpr 24
		.amdhsa_reserve_vcc 1
		.amdhsa_reserve_flat_scratch 0
		.amdhsa_float_round_mode_32 0
		.amdhsa_float_round_mode_16_64 0
		.amdhsa_float_denorm_mode_32 3
		.amdhsa_float_denorm_mode_16_64 3
		.amdhsa_dx10_clamp 1
		.amdhsa_ieee_mode 1
		.amdhsa_fp16_overflow 0
		.amdhsa_exception_fp_ieee_invalid_op 0
		.amdhsa_exception_fp_denorm_src 0
		.amdhsa_exception_fp_ieee_div_zero 0
		.amdhsa_exception_fp_ieee_overflow 0
		.amdhsa_exception_fp_ieee_underflow 0
		.amdhsa_exception_fp_ieee_inexact 0
		.amdhsa_exception_int_div_zero 0
	.end_amdhsa_kernel
	.section	.text._ZN9rocsparseL37csrgeam_fill_numeric_multipass_kernelILj256ELj64EiidEEvllNS_24const_host_device_scalarIT3_EEPKT1_PKT2_PKS2_S3_S6_S9_SB_S6_PS2_21rocsparse_index_base_SD_SD_bbb,"axG",@progbits,_ZN9rocsparseL37csrgeam_fill_numeric_multipass_kernelILj256ELj64EiidEEvllNS_24const_host_device_scalarIT3_EEPKT1_PKT2_PKS2_S3_S6_S9_SB_S6_PS2_21rocsparse_index_base_SD_SD_bbb,comdat
.Lfunc_end7:
	.size	_ZN9rocsparseL37csrgeam_fill_numeric_multipass_kernelILj256ELj64EiidEEvllNS_24const_host_device_scalarIT3_EEPKT1_PKT2_PKS2_S3_S6_S9_SB_S6_PS2_21rocsparse_index_base_SD_SD_bbb, .Lfunc_end7-_ZN9rocsparseL37csrgeam_fill_numeric_multipass_kernelILj256ELj64EiidEEvllNS_24const_host_device_scalarIT3_EEPKT1_PKT2_PKS2_S3_S6_S9_SB_S6_PS2_21rocsparse_index_base_SD_SD_bbb
                                        ; -- End function
	.set _ZN9rocsparseL37csrgeam_fill_numeric_multipass_kernelILj256ELj64EiidEEvllNS_24const_host_device_scalarIT3_EEPKT1_PKT2_PKS2_S3_S6_S9_SB_S6_PS2_21rocsparse_index_base_SD_SD_bbb.num_vgpr, 33
	.set _ZN9rocsparseL37csrgeam_fill_numeric_multipass_kernelILj256ELj64EiidEEvllNS_24const_host_device_scalarIT3_EEPKT1_PKT2_PKS2_S3_S6_S9_SB_S6_PS2_21rocsparse_index_base_SD_SD_bbb.num_agpr, 0
	.set _ZN9rocsparseL37csrgeam_fill_numeric_multipass_kernelILj256ELj64EiidEEvllNS_24const_host_device_scalarIT3_EEPKT1_PKT2_PKS2_S3_S6_S9_SB_S6_PS2_21rocsparse_index_base_SD_SD_bbb.numbered_sgpr, 24
	.set _ZN9rocsparseL37csrgeam_fill_numeric_multipass_kernelILj256ELj64EiidEEvllNS_24const_host_device_scalarIT3_EEPKT1_PKT2_PKS2_S3_S6_S9_SB_S6_PS2_21rocsparse_index_base_SD_SD_bbb.num_named_barrier, 0
	.set _ZN9rocsparseL37csrgeam_fill_numeric_multipass_kernelILj256ELj64EiidEEvllNS_24const_host_device_scalarIT3_EEPKT1_PKT2_PKS2_S3_S6_S9_SB_S6_PS2_21rocsparse_index_base_SD_SD_bbb.private_seg_size, 0
	.set _ZN9rocsparseL37csrgeam_fill_numeric_multipass_kernelILj256ELj64EiidEEvllNS_24const_host_device_scalarIT3_EEPKT1_PKT2_PKS2_S3_S6_S9_SB_S6_PS2_21rocsparse_index_base_SD_SD_bbb.uses_vcc, 1
	.set _ZN9rocsparseL37csrgeam_fill_numeric_multipass_kernelILj256ELj64EiidEEvllNS_24const_host_device_scalarIT3_EEPKT1_PKT2_PKS2_S3_S6_S9_SB_S6_PS2_21rocsparse_index_base_SD_SD_bbb.uses_flat_scratch, 0
	.set _ZN9rocsparseL37csrgeam_fill_numeric_multipass_kernelILj256ELj64EiidEEvllNS_24const_host_device_scalarIT3_EEPKT1_PKT2_PKS2_S3_S6_S9_SB_S6_PS2_21rocsparse_index_base_SD_SD_bbb.has_dyn_sized_stack, 0
	.set _ZN9rocsparseL37csrgeam_fill_numeric_multipass_kernelILj256ELj64EiidEEvllNS_24const_host_device_scalarIT3_EEPKT1_PKT2_PKS2_S3_S6_S9_SB_S6_PS2_21rocsparse_index_base_SD_SD_bbb.has_recursion, 0
	.set _ZN9rocsparseL37csrgeam_fill_numeric_multipass_kernelILj256ELj64EiidEEvllNS_24const_host_device_scalarIT3_EEPKT1_PKT2_PKS2_S3_S6_S9_SB_S6_PS2_21rocsparse_index_base_SD_SD_bbb.has_indirect_call, 0
	.section	.AMDGPU.csdata,"",@progbits
; Kernel info:
; codeLenInByte = 1508
; TotalNumSgprs: 28
; NumVgprs: 33
; ScratchSize: 0
; MemoryBound: 0
; FloatMode: 240
; IeeeMode: 1
; LDSByteSize: 2304 bytes/workgroup (compile time only)
; SGPRBlocks: 3
; VGPRBlocks: 8
; NumSGPRsForWavesPerEU: 28
; NumVGPRsForWavesPerEU: 33
; Occupancy: 7
; WaveLimiterHint : 1
; COMPUTE_PGM_RSRC2:SCRATCH_EN: 0
; COMPUTE_PGM_RSRC2:USER_SGPR: 6
; COMPUTE_PGM_RSRC2:TRAP_HANDLER: 0
; COMPUTE_PGM_RSRC2:TGID_X_EN: 1
; COMPUTE_PGM_RSRC2:TGID_Y_EN: 0
; COMPUTE_PGM_RSRC2:TGID_Z_EN: 0
; COMPUTE_PGM_RSRC2:TIDIG_COMP_CNT: 0
	.section	.text._ZN9rocsparseL37csrgeam_fill_numeric_multipass_kernelILj256ELj32ElidEEvllNS_24const_host_device_scalarIT3_EEPKT1_PKT2_PKS2_S3_S6_S9_SB_S6_PS2_21rocsparse_index_base_SD_SD_bbb,"axG",@progbits,_ZN9rocsparseL37csrgeam_fill_numeric_multipass_kernelILj256ELj32ElidEEvllNS_24const_host_device_scalarIT3_EEPKT1_PKT2_PKS2_S3_S6_S9_SB_S6_PS2_21rocsparse_index_base_SD_SD_bbb,comdat
	.globl	_ZN9rocsparseL37csrgeam_fill_numeric_multipass_kernelILj256ELj32ElidEEvllNS_24const_host_device_scalarIT3_EEPKT1_PKT2_PKS2_S3_S6_S9_SB_S6_PS2_21rocsparse_index_base_SD_SD_bbb ; -- Begin function _ZN9rocsparseL37csrgeam_fill_numeric_multipass_kernelILj256ELj32ElidEEvllNS_24const_host_device_scalarIT3_EEPKT1_PKT2_PKS2_S3_S6_S9_SB_S6_PS2_21rocsparse_index_base_SD_SD_bbb
	.p2align	8
	.type	_ZN9rocsparseL37csrgeam_fill_numeric_multipass_kernelILj256ELj32ElidEEvllNS_24const_host_device_scalarIT3_EEPKT1_PKT2_PKS2_S3_S6_S9_SB_S6_PS2_21rocsparse_index_base_SD_SD_bbb,@function
_ZN9rocsparseL37csrgeam_fill_numeric_multipass_kernelILj256ELj32ElidEEvllNS_24const_host_device_scalarIT3_EEPKT1_PKT2_PKS2_S3_S6_S9_SB_S6_PS2_21rocsparse_index_base_SD_SD_bbb: ; @_ZN9rocsparseL37csrgeam_fill_numeric_multipass_kernelILj256ELj32ElidEEvllNS_24const_host_device_scalarIT3_EEPKT1_PKT2_PKS2_S3_S6_S9_SB_S6_PS2_21rocsparse_index_base_SD_SD_bbb
; %bb.0:
	s_load_dwordx4 s[8:11], s[4:5], 0x60
	s_load_dwordx2 s[12:13], s[4:5], 0x30
	s_load_dword s7, s[4:5], 0x6c
	s_load_dwordx4 s[0:3], s[4:5], 0x0
	s_load_dwordx2 s[16:17], s[4:5], 0x10
	s_waitcnt lgkmcnt(0)
	s_bitcmp1_b32 s11, 0
	s_cselect_b64 s[18:19], -1, 0
	s_bitcmp1_b32 s7, 16
	s_cselect_b64 s[14:15], -1, 0
	s_xor_b64 s[20:21], s[18:19], -1
	s_or_b64 s[20:21], s[14:15], s[20:21]
	s_and_b64 s[18:19], s[18:19], exec
	s_cselect_b32 s18, s16, 0
	s_cselect_b32 s19, s17, 0
	v_mov_b32_e32 v9, s18
	s_and_b64 vcc, exec, s[20:21]
	v_mov_b32_e32 v10, s19
	s_cbranch_vccnz .LBB8_2
; %bb.1:
	v_mov_b32_e32 v1, s16
	v_mov_b32_e32 v2, s17
	flat_load_dwordx2 v[9:10], v[1:2]
.LBB8_2:
	s_bitcmp1_b32 s7, 8
	s_cselect_b64 s[16:17], -1, 0
	s_xor_b64 s[18:19], s[16:17], -1
	s_or_b64 s[14:15], s[14:15], s[18:19]
	s_and_b64 s[16:17], s[16:17], exec
	s_cselect_b32 s16, s12, 0
	s_cselect_b32 s17, s13, 0
	v_mov_b32_e32 v11, s16
	s_and_b64 vcc, exec, s[14:15]
	v_mov_b32_e32 v12, s17
	s_cbranch_vccnz .LBB8_4
; %bb.3:
	v_mov_b32_e32 v1, s12
	v_mov_b32_e32 v2, s13
	flat_load_dwordx2 v[11:12], v[1:2]
.LBB8_4:
	s_lshl_b32 s6, s6, 3
	v_lshrrev_b32_e32 v1, 5, v0
	s_and_b32 s6, s6, 0x7fffff8
	v_or_b32_e32 v1, s6, v1
	v_mov_b32_e32 v2, 0
	v_cmp_gt_i64_e32 vcc, s[0:1], v[1:2]
	s_and_saveexec_b64 s[0:1], vcc
	s_cbranch_execz .LBB8_35
; %bb.5:
	s_load_dwordx4 s[12:15], s[4:5], 0x18
	s_load_dwordx2 s[0:1], s[4:5], 0x50
	s_load_dwordx2 s[6:7], s[4:5], 0x38
	v_lshlrev_b32_e32 v13, 3, v1
	s_waitcnt lgkmcnt(0)
	global_load_dwordx4 v[1:4], v13, s[12:13]
	global_load_dwordx4 v[5:8], v13, s[6:7]
	global_load_dwordx2 v[15:16], v13, s[0:1]
	s_waitcnt vmcnt(0)
	v_cmp_ge_i64_e32 vcc, v[1:2], v[3:4]
	v_subrev_co_u32_e64 v13, s[0:1], s8, v1
	v_subbrev_co_u32_e64 v14, s[0:1], 0, v2, s[0:1]
	s_and_saveexec_b64 s[0:1], vcc
	s_xor_b64 s[0:1], exec, s[0:1]
	s_or_saveexec_b64 s[0:1], s[0:1]
	v_mov_b32_e32 v19, s2
	s_xor_b64 exec, exec, s[0:1]
	s_cbranch_execz .LBB8_7
; %bb.6:
	v_lshlrev_b64 v[1:2], 2, v[13:14]
	v_mov_b32_e32 v17, s15
	v_add_co_u32_e32 v1, vcc, s14, v1
	v_addc_co_u32_e32 v2, vcc, v17, v2, vcc
	global_load_dword v1, v[1:2], off
	s_waitcnt vmcnt(0)
	v_subrev_u32_e32 v19, s8, v1
.LBB8_7:
	s_or_b64 exec, exec, s[0:1]
	s_load_dwordx2 s[6:7], s[4:5], 0x40
	v_subrev_co_u32_e32 v17, vcc, s9, v5
	v_subbrev_co_u32_e32 v18, vcc, 0, v6, vcc
	v_cmp_ge_i64_e32 vcc, v[5:6], v[7:8]
	s_mov_b32 s11, s9
	v_mov_b32_e32 v22, s2
	s_and_saveexec_b64 s[0:1], vcc
	s_xor_b64 s[0:1], exec, s[0:1]
; %bb.8:
	v_mov_b32_e32 v22, s2
; %bb.9:
	s_or_saveexec_b64 s[0:1], s[0:1]
	s_load_dwordx2 s[12:13], s[4:5], 0x58
	s_load_dwordx2 s[16:17], s[4:5], 0x48
	;; [unrolled: 1-line block ×3, first 2 shown]
	v_mov_b32_e32 v20, v22
	s_xor_b64 exec, exec, s[0:1]
	s_cbranch_execz .LBB8_11
; %bb.10:
	v_lshlrev_b64 v[1:2], 2, v[17:18]
	s_waitcnt lgkmcnt(0)
	v_mov_b32_e32 v5, s7
	v_add_co_u32_e32 v1, vcc, s6, v1
	v_addc_co_u32_e32 v2, vcc, v5, v2, vcc
	global_load_dword v1, v[1:2], off
	s_waitcnt vmcnt(0)
	v_subrev_u32_e32 v20, s9, v1
.LBB8_11:
	s_or_b64 exec, exec, s[0:1]
	v_subrev_co_u32_e32 v1, vcc, s8, v3
	v_subbrev_co_u32_e32 v2, vcc, 0, v4, vcc
	v_subrev_co_u32_e32 v3, vcc, s11, v7
	v_subbrev_co_u32_e32 v4, vcc, 0, v8, vcc
	;; [unrolled: 2-line block ×3, first 2 shown]
	v_and_b32_e32 v23, 31, v0
	v_add_co_u32_e32 v7, vcc, v13, v23
	v_mbcnt_lo_u32_b32 v15, -1, 0
	v_addc_co_u32_e32 v8, vcc, 0, v14, vcc
	v_mbcnt_hi_u32_b32 v15, -1, v15
	v_add_co_u32_e32 v13, vcc, v17, v23
	v_and_b32_e32 v16, 64, v15
	v_addc_co_u32_e32 v14, vcc, 0, v18, vcc
	v_add_u32_e32 v16, 64, v16
	v_xor_b32_e32 v17, 16, v15
	v_xor_b32_e32 v18, 8, v15
	v_cmp_lt_i32_e32 vcc, v17, v16
	v_xor_b32_e32 v21, 4, v15
	v_cndmask_b32_e32 v27, v15, v17, vcc
	v_cmp_lt_i32_e32 vcc, v18, v16
	v_xor_b32_e32 v24, 2, v15
	v_cndmask_b32_e32 v18, v15, v18, vcc
	;; [unrolled: 3-line block ×3, first 2 shown]
	v_cmp_lt_i32_e32 vcc, v24, v16
	v_and_b32_e32 v26, 0xe0, v0
	v_cndmask_b32_e32 v29, v15, v24, vcc
	v_cmp_lt_i32_e32 vcc, v25, v16
	v_cndmask_b32_e32 v15, v15, v25, vcc
	v_lshlrev_b32_e32 v24, 3, v26
	v_xor_b32_e32 v16, 31, v23
	v_or_b32_e32 v0, 0x800, v26
	v_min_i32_e32 v17, v20, v19
	v_lshrrev_b32_e64 v25, v16, -1
	v_lshlrev_b32_e32 v26, 2, v27
	v_lshlrev_b32_e32 v27, 2, v18
	v_lshlrev_b32_e32 v28, 2, v21
	v_lshlrev_b32_e32 v29, 2, v29
	v_lshlrev_b32_e32 v30, 2, v15
	s_mov_b64 s[4:5], 0
	v_lshl_or_b32 v31, v23, 3, v24
	v_mov_b32_e32 v32, 1
	v_mov_b32_e32 v15, 0
	s_branch .LBB8_13
.LBB8_12:                               ;   in Loop: Header=BB8_13 Depth=1
	s_or_b64 exec, exec, s[10:11]
	ds_bpermute_b32 v17, v26, v16
	s_bcnt1_i32_b64 s10, vcc
	v_add_co_u32_e32 v5, vcc, s10, v5
	v_addc_co_u32_e32 v6, vcc, 0, v6, vcc
	s_waitcnt lgkmcnt(0)
	v_min_i32_e32 v16, v17, v16
	ds_bpermute_b32 v17, v27, v16
	s_waitcnt lgkmcnt(0)
	v_min_i32_e32 v16, v17, v16
	ds_bpermute_b32 v17, v28, v16
	s_waitcnt lgkmcnt(0)
	v_min_i32_e32 v16, v17, v16
	ds_bpermute_b32 v17, v29, v16
	s_waitcnt lgkmcnt(0)
	v_min_i32_e32 v16, v17, v16
	ds_bpermute_b32 v17, v30, v16
	s_waitcnt lgkmcnt(0)
	v_min_i32_e32 v17, v17, v16
	v_ashrrev_i32_e32 v18, 31, v17
	v_cmp_le_i64_e64 s[0:1], s[2:3], v[17:18]
	s_or_b64 s[4:5], s[0:1], s[4:5]
	s_andn2_b64 exec, exec, s[4:5]
	s_cbranch_execz .LBB8_35
.LBB8_13:                               ; =>This Loop Header: Depth=1
                                        ;     Child Loop BB8_16 Depth 2
                                        ;     Child Loop BB8_26 Depth 2
	v_mov_b32_e32 v16, v15
	v_cmp_lt_i64_e32 vcc, v[7:8], v[1:2]
	v_add_u32_e32 v33, v0, v23
	ds_write_b64 v31, v[15:16]
	v_mov_b32_e32 v16, v22
	ds_write_b8 v33, v15
	s_waitcnt lgkmcnt(0)
	s_and_saveexec_b64 s[10:11], vcc
	s_cbranch_execz .LBB8_23
; %bb.14:                               ;   in Loop: Header=BB8_13 Depth=1
	v_lshlrev_b64 v[18:19], 2, v[7:8]
	v_mov_b32_e32 v16, s15
	v_add_co_u32_e32 v18, vcc, s14, v18
	v_lshlrev_b64 v[20:21], 3, v[7:8]
	v_addc_co_u32_e32 v19, vcc, v16, v19, vcc
	v_mov_b32_e32 v16, s19
	v_add_co_u32_e32 v20, vcc, s18, v20
	v_addc_co_u32_e32 v21, vcc, v16, v21, vcc
	s_mov_b64 s[20:21], 0
	v_mov_b32_e32 v16, v22
	s_branch .LBB8_16
.LBB8_15:                               ;   in Loop: Header=BB8_16 Depth=2
	s_or_b64 exec, exec, s[22:23]
	s_and_b64 s[0:1], exec, s[0:1]
	s_or_b64 s[20:21], s[0:1], s[20:21]
	s_andn2_b64 exec, exec, s[20:21]
	s_cbranch_execz .LBB8_22
.LBB8_16:                               ;   Parent Loop BB8_13 Depth=1
                                        ; =>  This Inner Loop Header: Depth=2
	global_load_dword v34, v[18:19], off
	s_waitcnt vmcnt(0)
	v_subrev_u32_e32 v35, s8, v34
	v_sub_u32_e32 v34, v35, v17
	v_cmp_gt_u32_e32 vcc, 32, v34
	v_cmp_lt_u32_e64 s[0:1], 31, v34
	s_and_saveexec_b64 s[22:23], s[0:1]
	s_xor_b64 s[0:1], exec, s[22:23]
	s_cbranch_execnz .LBB8_19
; %bb.17:                               ;   in Loop: Header=BB8_16 Depth=2
	s_andn2_saveexec_b64 s[0:1], s[0:1]
	s_cbranch_execnz .LBB8_20
.LBB8_18:                               ;   in Loop: Header=BB8_16 Depth=2
	s_or_b64 exec, exec, s[0:1]
	s_mov_b64 s[0:1], -1
	s_and_saveexec_b64 s[22:23], vcc
	s_cbranch_execz .LBB8_15
	s_branch .LBB8_21
.LBB8_19:                               ;   in Loop: Header=BB8_16 Depth=2
	v_min_i32_e32 v16, v35, v16
                                        ; implicit-def: $vgpr34
	s_andn2_saveexec_b64 s[0:1], s[0:1]
	s_cbranch_execz .LBB8_18
.LBB8_20:                               ;   in Loop: Header=BB8_16 Depth=2
	global_load_dwordx2 v[35:36], v[20:21], off
	v_add_u32_e32 v37, v0, v34
	v_lshl_add_u32 v34, v34, 3, v24
	ds_write_b8 v37, v32
	s_waitcnt vmcnt(0)
	v_mul_f64 v[35:36], v[9:10], v[35:36]
	ds_write_b64 v34, v[35:36]
	s_or_b64 exec, exec, s[0:1]
	s_mov_b64 s[0:1], -1
	s_and_saveexec_b64 s[22:23], vcc
	s_cbranch_execz .LBB8_15
.LBB8_21:                               ;   in Loop: Header=BB8_16 Depth=2
	v_add_co_u32_e32 v7, vcc, 32, v7
	v_addc_co_u32_e32 v8, vcc, 0, v8, vcc
	v_add_co_u32_e32 v18, vcc, 0x80, v18
	v_addc_co_u32_e32 v19, vcc, 0, v19, vcc
	v_cmp_ge_i64_e64 s[0:1], v[7:8], v[1:2]
	v_add_co_u32_e32 v20, vcc, 0x100, v20
	v_addc_co_u32_e32 v21, vcc, 0, v21, vcc
	s_orn2_b64 s[0:1], s[0:1], exec
	s_branch .LBB8_15
.LBB8_22:                               ;   in Loop: Header=BB8_13 Depth=1
	s_or_b64 exec, exec, s[20:21]
.LBB8_23:                               ;   in Loop: Header=BB8_13 Depth=1
	s_or_b64 exec, exec, s[10:11]
	v_cmp_lt_i64_e32 vcc, v[13:14], v[3:4]
	s_waitcnt lgkmcnt(0)
	s_and_saveexec_b64 s[10:11], vcc
	s_cbranch_execz .LBB8_33
; %bb.24:                               ;   in Loop: Header=BB8_13 Depth=1
	v_lshlrev_b64 v[18:19], 2, v[13:14]
	v_mov_b32_e32 v20, s7
	v_add_co_u32_e32 v18, vcc, s6, v18
	v_addc_co_u32_e32 v19, vcc, v20, v19, vcc
	v_lshlrev_b64 v[20:21], 3, v[13:14]
	v_mov_b32_e32 v34, s17
	v_add_co_u32_e32 v20, vcc, s16, v20
	v_addc_co_u32_e32 v21, vcc, v34, v21, vcc
	s_mov_b64 s[20:21], 0
	s_branch .LBB8_26
.LBB8_25:                               ;   in Loop: Header=BB8_26 Depth=2
	s_or_b64 exec, exec, s[22:23]
	s_and_b64 s[0:1], exec, s[0:1]
	s_or_b64 s[20:21], s[0:1], s[20:21]
	s_andn2_b64 exec, exec, s[20:21]
	s_cbranch_execz .LBB8_32
.LBB8_26:                               ;   Parent Loop BB8_13 Depth=1
                                        ; =>  This Inner Loop Header: Depth=2
	global_load_dword v34, v[18:19], off
	s_waitcnt vmcnt(0)
	v_subrev_u32_e32 v35, s9, v34
	v_sub_u32_e32 v34, v35, v17
	v_cmp_gt_u32_e32 vcc, 32, v34
	v_cmp_lt_u32_e64 s[0:1], 31, v34
	s_and_saveexec_b64 s[22:23], s[0:1]
	s_xor_b64 s[0:1], exec, s[22:23]
	s_cbranch_execnz .LBB8_29
; %bb.27:                               ;   in Loop: Header=BB8_26 Depth=2
	s_andn2_saveexec_b64 s[0:1], s[0:1]
	s_cbranch_execnz .LBB8_30
.LBB8_28:                               ;   in Loop: Header=BB8_26 Depth=2
	s_or_b64 exec, exec, s[0:1]
	s_mov_b64 s[0:1], -1
	s_and_saveexec_b64 s[22:23], vcc
	s_cbranch_execz .LBB8_25
	s_branch .LBB8_31
.LBB8_29:                               ;   in Loop: Header=BB8_26 Depth=2
	v_min_i32_e32 v16, v35, v16
                                        ; implicit-def: $vgpr34
	s_andn2_saveexec_b64 s[0:1], s[0:1]
	s_cbranch_execz .LBB8_28
.LBB8_30:                               ;   in Loop: Header=BB8_26 Depth=2
	global_load_dwordx2 v[35:36], v[20:21], off
	v_lshl_add_u32 v39, v34, 3, v24
	ds_read_b64 v[37:38], v39
	v_add_u32_e32 v34, v0, v34
	s_waitcnt vmcnt(0) lgkmcnt(0)
	v_fma_f64 v[35:36], v[11:12], v[35:36], v[37:38]
	ds_write_b8 v34, v32
	ds_write_b64 v39, v[35:36]
	s_or_b64 exec, exec, s[0:1]
	s_mov_b64 s[0:1], -1
	s_and_saveexec_b64 s[22:23], vcc
	s_cbranch_execz .LBB8_25
.LBB8_31:                               ;   in Loop: Header=BB8_26 Depth=2
	v_add_co_u32_e32 v13, vcc, 32, v13
	v_addc_co_u32_e32 v14, vcc, 0, v14, vcc
	v_add_co_u32_e32 v18, vcc, 0x80, v18
	v_addc_co_u32_e32 v19, vcc, 0, v19, vcc
	v_cmp_ge_i64_e64 s[0:1], v[13:14], v[3:4]
	v_add_co_u32_e32 v20, vcc, 0x100, v20
	v_addc_co_u32_e32 v21, vcc, 0, v21, vcc
	s_orn2_b64 s[0:1], s[0:1], exec
	s_branch .LBB8_25
.LBB8_32:                               ;   in Loop: Header=BB8_13 Depth=1
	s_or_b64 exec, exec, s[20:21]
.LBB8_33:                               ;   in Loop: Header=BB8_13 Depth=1
	s_or_b64 exec, exec, s[10:11]
	s_waitcnt lgkmcnt(0)
	ds_read_u8 v17, v33
	s_waitcnt lgkmcnt(0)
	v_and_b32_e32 v18, 1, v17
	v_cmp_eq_u32_e64 s[0:1], 1, v18
	v_cmp_ne_u16_e32 vcc, 0, v17
	s_and_saveexec_b64 s[10:11], s[0:1]
	s_cbranch_execz .LBB8_12
; %bb.34:                               ;   in Loop: Header=BB8_13 Depth=1
	v_lshlrev_b64 v[17:18], 3, v[5:6]
	v_mov_b32_e32 v19, s13
	v_add_co_u32_e64 v20, s[0:1], s12, v17
	v_and_b32_e32 v17, vcc_lo, v25
	v_bcnt_u32_b32 v17, v17, 0
	v_addc_co_u32_e64 v21, s[0:1], v19, v18, s[0:1]
	v_lshlrev_b32_e32 v19, 3, v17
	ds_read_b64 v[17:18], v31
	v_add_co_u32_e64 v19, s[0:1], v20, v19
	v_addc_co_u32_e64 v20, s[0:1], 0, v21, s[0:1]
	s_waitcnt lgkmcnt(0)
	global_store_dwordx2 v[19:20], v[17:18], off offset:-8
	s_branch .LBB8_12
.LBB8_35:
	s_endpgm
	.section	.rodata,"a",@progbits
	.p2align	6, 0x0
	.amdhsa_kernel _ZN9rocsparseL37csrgeam_fill_numeric_multipass_kernelILj256ELj32ElidEEvllNS_24const_host_device_scalarIT3_EEPKT1_PKT2_PKS2_S3_S6_S9_SB_S6_PS2_21rocsparse_index_base_SD_SD_bbb
		.amdhsa_group_segment_fixed_size 2304
		.amdhsa_private_segment_fixed_size 0
		.amdhsa_kernarg_size 112
		.amdhsa_user_sgpr_count 6
		.amdhsa_user_sgpr_private_segment_buffer 1
		.amdhsa_user_sgpr_dispatch_ptr 0
		.amdhsa_user_sgpr_queue_ptr 0
		.amdhsa_user_sgpr_kernarg_segment_ptr 1
		.amdhsa_user_sgpr_dispatch_id 0
		.amdhsa_user_sgpr_flat_scratch_init 0
		.amdhsa_user_sgpr_private_segment_size 0
		.amdhsa_uses_dynamic_stack 0
		.amdhsa_system_sgpr_private_segment_wavefront_offset 0
		.amdhsa_system_sgpr_workgroup_id_x 1
		.amdhsa_system_sgpr_workgroup_id_y 0
		.amdhsa_system_sgpr_workgroup_id_z 0
		.amdhsa_system_sgpr_workgroup_info 0
		.amdhsa_system_vgpr_workitem_id 0
		.amdhsa_next_free_vgpr 40
		.amdhsa_next_free_sgpr 24
		.amdhsa_reserve_vcc 1
		.amdhsa_reserve_flat_scratch 0
		.amdhsa_float_round_mode_32 0
		.amdhsa_float_round_mode_16_64 0
		.amdhsa_float_denorm_mode_32 3
		.amdhsa_float_denorm_mode_16_64 3
		.amdhsa_dx10_clamp 1
		.amdhsa_ieee_mode 1
		.amdhsa_fp16_overflow 0
		.amdhsa_exception_fp_ieee_invalid_op 0
		.amdhsa_exception_fp_denorm_src 0
		.amdhsa_exception_fp_ieee_div_zero 0
		.amdhsa_exception_fp_ieee_overflow 0
		.amdhsa_exception_fp_ieee_underflow 0
		.amdhsa_exception_fp_ieee_inexact 0
		.amdhsa_exception_int_div_zero 0
	.end_amdhsa_kernel
	.section	.text._ZN9rocsparseL37csrgeam_fill_numeric_multipass_kernelILj256ELj32ElidEEvllNS_24const_host_device_scalarIT3_EEPKT1_PKT2_PKS2_S3_S6_S9_SB_S6_PS2_21rocsparse_index_base_SD_SD_bbb,"axG",@progbits,_ZN9rocsparseL37csrgeam_fill_numeric_multipass_kernelILj256ELj32ElidEEvllNS_24const_host_device_scalarIT3_EEPKT1_PKT2_PKS2_S3_S6_S9_SB_S6_PS2_21rocsparse_index_base_SD_SD_bbb,comdat
.Lfunc_end8:
	.size	_ZN9rocsparseL37csrgeam_fill_numeric_multipass_kernelILj256ELj32ElidEEvllNS_24const_host_device_scalarIT3_EEPKT1_PKT2_PKS2_S3_S6_S9_SB_S6_PS2_21rocsparse_index_base_SD_SD_bbb, .Lfunc_end8-_ZN9rocsparseL37csrgeam_fill_numeric_multipass_kernelILj256ELj32ElidEEvllNS_24const_host_device_scalarIT3_EEPKT1_PKT2_PKS2_S3_S6_S9_SB_S6_PS2_21rocsparse_index_base_SD_SD_bbb
                                        ; -- End function
	.set _ZN9rocsparseL37csrgeam_fill_numeric_multipass_kernelILj256ELj32ElidEEvllNS_24const_host_device_scalarIT3_EEPKT1_PKT2_PKS2_S3_S6_S9_SB_S6_PS2_21rocsparse_index_base_SD_SD_bbb.num_vgpr, 40
	.set _ZN9rocsparseL37csrgeam_fill_numeric_multipass_kernelILj256ELj32ElidEEvllNS_24const_host_device_scalarIT3_EEPKT1_PKT2_PKS2_S3_S6_S9_SB_S6_PS2_21rocsparse_index_base_SD_SD_bbb.num_agpr, 0
	.set _ZN9rocsparseL37csrgeam_fill_numeric_multipass_kernelILj256ELj32ElidEEvllNS_24const_host_device_scalarIT3_EEPKT1_PKT2_PKS2_S3_S6_S9_SB_S6_PS2_21rocsparse_index_base_SD_SD_bbb.numbered_sgpr, 24
	.set _ZN9rocsparseL37csrgeam_fill_numeric_multipass_kernelILj256ELj32ElidEEvllNS_24const_host_device_scalarIT3_EEPKT1_PKT2_PKS2_S3_S6_S9_SB_S6_PS2_21rocsparse_index_base_SD_SD_bbb.num_named_barrier, 0
	.set _ZN9rocsparseL37csrgeam_fill_numeric_multipass_kernelILj256ELj32ElidEEvllNS_24const_host_device_scalarIT3_EEPKT1_PKT2_PKS2_S3_S6_S9_SB_S6_PS2_21rocsparse_index_base_SD_SD_bbb.private_seg_size, 0
	.set _ZN9rocsparseL37csrgeam_fill_numeric_multipass_kernelILj256ELj32ElidEEvllNS_24const_host_device_scalarIT3_EEPKT1_PKT2_PKS2_S3_S6_S9_SB_S6_PS2_21rocsparse_index_base_SD_SD_bbb.uses_vcc, 1
	.set _ZN9rocsparseL37csrgeam_fill_numeric_multipass_kernelILj256ELj32ElidEEvllNS_24const_host_device_scalarIT3_EEPKT1_PKT2_PKS2_S3_S6_S9_SB_S6_PS2_21rocsparse_index_base_SD_SD_bbb.uses_flat_scratch, 0
	.set _ZN9rocsparseL37csrgeam_fill_numeric_multipass_kernelILj256ELj32ElidEEvllNS_24const_host_device_scalarIT3_EEPKT1_PKT2_PKS2_S3_S6_S9_SB_S6_PS2_21rocsparse_index_base_SD_SD_bbb.has_dyn_sized_stack, 0
	.set _ZN9rocsparseL37csrgeam_fill_numeric_multipass_kernelILj256ELj32ElidEEvllNS_24const_host_device_scalarIT3_EEPKT1_PKT2_PKS2_S3_S6_S9_SB_S6_PS2_21rocsparse_index_base_SD_SD_bbb.has_recursion, 0
	.set _ZN9rocsparseL37csrgeam_fill_numeric_multipass_kernelILj256ELj32ElidEEvllNS_24const_host_device_scalarIT3_EEPKT1_PKT2_PKS2_S3_S6_S9_SB_S6_PS2_21rocsparse_index_base_SD_SD_bbb.has_indirect_call, 0
	.section	.AMDGPU.csdata,"",@progbits
; Kernel info:
; codeLenInByte = 1548
; TotalNumSgprs: 28
; NumVgprs: 40
; ScratchSize: 0
; MemoryBound: 0
; FloatMode: 240
; IeeeMode: 1
; LDSByteSize: 2304 bytes/workgroup (compile time only)
; SGPRBlocks: 3
; VGPRBlocks: 9
; NumSGPRsForWavesPerEU: 28
; NumVGPRsForWavesPerEU: 40
; Occupancy: 6
; WaveLimiterHint : 1
; COMPUTE_PGM_RSRC2:SCRATCH_EN: 0
; COMPUTE_PGM_RSRC2:USER_SGPR: 6
; COMPUTE_PGM_RSRC2:TRAP_HANDLER: 0
; COMPUTE_PGM_RSRC2:TGID_X_EN: 1
; COMPUTE_PGM_RSRC2:TGID_Y_EN: 0
; COMPUTE_PGM_RSRC2:TGID_Z_EN: 0
; COMPUTE_PGM_RSRC2:TIDIG_COMP_CNT: 0
	.section	.text._ZN9rocsparseL37csrgeam_fill_numeric_multipass_kernelILj256ELj64ElidEEvllNS_24const_host_device_scalarIT3_EEPKT1_PKT2_PKS2_S3_S6_S9_SB_S6_PS2_21rocsparse_index_base_SD_SD_bbb,"axG",@progbits,_ZN9rocsparseL37csrgeam_fill_numeric_multipass_kernelILj256ELj64ElidEEvllNS_24const_host_device_scalarIT3_EEPKT1_PKT2_PKS2_S3_S6_S9_SB_S6_PS2_21rocsparse_index_base_SD_SD_bbb,comdat
	.globl	_ZN9rocsparseL37csrgeam_fill_numeric_multipass_kernelILj256ELj64ElidEEvllNS_24const_host_device_scalarIT3_EEPKT1_PKT2_PKS2_S3_S6_S9_SB_S6_PS2_21rocsparse_index_base_SD_SD_bbb ; -- Begin function _ZN9rocsparseL37csrgeam_fill_numeric_multipass_kernelILj256ELj64ElidEEvllNS_24const_host_device_scalarIT3_EEPKT1_PKT2_PKS2_S3_S6_S9_SB_S6_PS2_21rocsparse_index_base_SD_SD_bbb
	.p2align	8
	.type	_ZN9rocsparseL37csrgeam_fill_numeric_multipass_kernelILj256ELj64ElidEEvllNS_24const_host_device_scalarIT3_EEPKT1_PKT2_PKS2_S3_S6_S9_SB_S6_PS2_21rocsparse_index_base_SD_SD_bbb,@function
_ZN9rocsparseL37csrgeam_fill_numeric_multipass_kernelILj256ELj64ElidEEvllNS_24const_host_device_scalarIT3_EEPKT1_PKT2_PKS2_S3_S6_S9_SB_S6_PS2_21rocsparse_index_base_SD_SD_bbb: ; @_ZN9rocsparseL37csrgeam_fill_numeric_multipass_kernelILj256ELj64ElidEEvllNS_24const_host_device_scalarIT3_EEPKT1_PKT2_PKS2_S3_S6_S9_SB_S6_PS2_21rocsparse_index_base_SD_SD_bbb
; %bb.0:
	s_load_dwordx4 s[8:11], s[4:5], 0x60
	s_load_dwordx2 s[12:13], s[4:5], 0x30
	s_load_dword s7, s[4:5], 0x6c
	s_load_dwordx4 s[0:3], s[4:5], 0x0
	s_load_dwordx2 s[16:17], s[4:5], 0x10
	s_waitcnt lgkmcnt(0)
	s_bitcmp1_b32 s11, 0
	s_cselect_b64 s[18:19], -1, 0
	s_bitcmp1_b32 s7, 16
	s_cselect_b64 s[14:15], -1, 0
	s_xor_b64 s[20:21], s[18:19], -1
	s_or_b64 s[20:21], s[14:15], s[20:21]
	s_and_b64 s[18:19], s[18:19], exec
	s_cselect_b32 s18, s16, 0
	s_cselect_b32 s19, s17, 0
	v_mov_b32_e32 v9, s18
	s_and_b64 vcc, exec, s[20:21]
	v_mov_b32_e32 v10, s19
	s_cbranch_vccnz .LBB9_2
; %bb.1:
	v_mov_b32_e32 v1, s16
	v_mov_b32_e32 v2, s17
	flat_load_dwordx2 v[9:10], v[1:2]
.LBB9_2:
	s_bitcmp1_b32 s7, 8
	s_cselect_b64 s[16:17], -1, 0
	s_xor_b64 s[18:19], s[16:17], -1
	s_or_b64 s[14:15], s[14:15], s[18:19]
	s_and_b64 s[16:17], s[16:17], exec
	s_cselect_b32 s16, s12, 0
	s_cselect_b32 s17, s13, 0
	v_mov_b32_e32 v11, s16
	s_and_b64 vcc, exec, s[14:15]
	v_mov_b32_e32 v12, s17
	s_cbranch_vccnz .LBB9_4
; %bb.3:
	v_mov_b32_e32 v1, s12
	v_mov_b32_e32 v2, s13
	flat_load_dwordx2 v[11:12], v[1:2]
.LBB9_4:
	s_lshl_b32 s6, s6, 2
	v_lshrrev_b32_e32 v1, 6, v0
	s_and_b32 s6, s6, 0x3fffffc
	v_or_b32_e32 v1, s6, v1
	v_mov_b32_e32 v2, 0
	v_cmp_gt_i64_e32 vcc, s[0:1], v[1:2]
	s_and_saveexec_b64 s[0:1], vcc
	s_cbranch_execz .LBB9_35
; %bb.5:
	s_load_dwordx4 s[12:15], s[4:5], 0x18
	s_load_dwordx2 s[0:1], s[4:5], 0x50
	s_load_dwordx2 s[6:7], s[4:5], 0x38
	v_lshlrev_b32_e32 v13, 3, v1
	s_waitcnt lgkmcnt(0)
	global_load_dwordx4 v[1:4], v13, s[12:13]
	global_load_dwordx4 v[5:8], v13, s[6:7]
	global_load_dwordx2 v[15:16], v13, s[0:1]
	s_waitcnt vmcnt(0)
	v_cmp_ge_i64_e32 vcc, v[1:2], v[3:4]
	v_subrev_co_u32_e64 v13, s[0:1], s8, v1
	v_subbrev_co_u32_e64 v14, s[0:1], 0, v2, s[0:1]
	s_and_saveexec_b64 s[0:1], vcc
	s_xor_b64 s[0:1], exec, s[0:1]
	s_or_saveexec_b64 s[0:1], s[0:1]
	v_mov_b32_e32 v19, s2
	s_xor_b64 exec, exec, s[0:1]
	s_cbranch_execz .LBB9_7
; %bb.6:
	v_lshlrev_b64 v[1:2], 2, v[13:14]
	v_mov_b32_e32 v17, s15
	v_add_co_u32_e32 v1, vcc, s14, v1
	v_addc_co_u32_e32 v2, vcc, v17, v2, vcc
	global_load_dword v1, v[1:2], off
	s_waitcnt vmcnt(0)
	v_subrev_u32_e32 v19, s8, v1
.LBB9_7:
	s_or_b64 exec, exec, s[0:1]
	s_load_dwordx2 s[6:7], s[4:5], 0x40
	v_subrev_co_u32_e32 v17, vcc, s9, v5
	v_subbrev_co_u32_e32 v18, vcc, 0, v6, vcc
	v_cmp_ge_i64_e32 vcc, v[5:6], v[7:8]
	s_mov_b32 s11, s9
	v_mov_b32_e32 v24, s2
	s_and_saveexec_b64 s[0:1], vcc
	s_xor_b64 s[0:1], exec, s[0:1]
; %bb.8:
	v_mov_b32_e32 v24, s2
; %bb.9:
	s_or_saveexec_b64 s[0:1], s[0:1]
	s_load_dwordx2 s[12:13], s[4:5], 0x58
	s_load_dwordx2 s[16:17], s[4:5], 0x48
	;; [unrolled: 1-line block ×3, first 2 shown]
	v_mov_b32_e32 v20, v24
	s_xor_b64 exec, exec, s[0:1]
	s_cbranch_execz .LBB9_11
; %bb.10:
	v_lshlrev_b64 v[1:2], 2, v[17:18]
	s_waitcnt lgkmcnt(0)
	v_mov_b32_e32 v5, s7
	v_add_co_u32_e32 v1, vcc, s6, v1
	v_addc_co_u32_e32 v2, vcc, v5, v2, vcc
	global_load_dword v1, v[1:2], off
	s_waitcnt vmcnt(0)
	v_subrev_u32_e32 v20, s9, v1
.LBB9_11:
	s_or_b64 exec, exec, s[0:1]
	v_subrev_co_u32_e32 v1, vcc, s8, v3
	v_subbrev_co_u32_e32 v2, vcc, 0, v4, vcc
	v_subrev_co_u32_e32 v3, vcc, s11, v7
	v_subbrev_co_u32_e32 v4, vcc, 0, v8, vcc
	;; [unrolled: 2-line block ×3, first 2 shown]
	v_and_b32_e32 v25, 63, v0
	v_add_co_u32_e32 v7, vcc, v13, v25
	v_mbcnt_lo_u32_b32 v15, -1, 0
	v_addc_co_u32_e32 v8, vcc, 0, v14, vcc
	v_mbcnt_hi_u32_b32 v15, -1, v15
	v_add_co_u32_e32 v13, vcc, v17, v25
	v_and_b32_e32 v16, 64, v15
	v_addc_co_u32_e32 v14, vcc, 0, v18, vcc
	v_add_u32_e32 v16, 64, v16
	v_xor_b32_e32 v26, 32, v15
	v_xor_b32_e32 v17, 16, v15
	v_cmp_lt_i32_e32 vcc, v26, v16
	v_xor_b32_e32 v18, 8, v15
	v_cndmask_b32_e32 v27, v15, v26, vcc
	v_cmp_lt_i32_e32 vcc, v17, v16
	v_xor_b32_e32 v21, 4, v15
	v_cndmask_b32_e32 v17, v15, v17, vcc
	v_cmp_lt_i32_e32 vcc, v18, v16
	v_xor_b32_e32 v22, 2, v15
	v_cndmask_b32_e32 v18, v15, v18, vcc
	v_cmp_lt_i32_e32 vcc, v21, v16
	v_xor_b32_e32 v23, 1, v15
	v_cndmask_b32_e32 v21, v15, v21, vcc
	v_cmp_lt_i32_e32 vcc, v22, v16
	v_cndmask_b32_e32 v22, v15, v22, vcc
	v_cmp_lt_i32_e32 vcc, v23, v16
	v_cndmask_b32_e32 v15, v15, v23, vcc
	v_and_b32_e32 v16, 0xc0, v0
	v_lshlrev_b32_e32 v32, 2, v15
	v_xor_b32_e32 v15, 63, v25
	v_or_b32_e32 v0, 0x800, v16
	v_lshlrev_b32_e32 v26, 3, v16
	v_lshrrev_b64 v[15:16], v15, -1
	v_min_i32_e32 v19, v20, v19
	v_lshlrev_b32_e32 v27, 2, v27
	v_lshlrev_b32_e32 v28, 2, v17
	;; [unrolled: 1-line block ×5, first 2 shown]
	s_mov_b64 s[4:5], 0
	v_lshl_or_b32 v33, v25, 3, v26
	v_mov_b32_e32 v34, 1
	v_mov_b32_e32 v17, 0
	s_branch .LBB9_13
.LBB9_12:                               ;   in Loop: Header=BB9_13 Depth=1
	s_or_b64 exec, exec, s[10:11]
	ds_bpermute_b32 v19, v27, v18
	s_bcnt1_i32_b64 s10, vcc
	v_add_co_u32_e32 v5, vcc, s10, v5
	v_addc_co_u32_e32 v6, vcc, 0, v6, vcc
	s_waitcnt lgkmcnt(0)
	v_min_i32_e32 v18, v19, v18
	ds_bpermute_b32 v19, v28, v18
	s_waitcnt lgkmcnt(0)
	v_min_i32_e32 v18, v19, v18
	ds_bpermute_b32 v19, v29, v18
	;; [unrolled: 3-line block ×5, first 2 shown]
	s_waitcnt lgkmcnt(0)
	v_min_i32_e32 v19, v19, v18
	v_ashrrev_i32_e32 v20, 31, v19
	v_cmp_le_i64_e64 s[0:1], s[2:3], v[19:20]
	s_or_b64 s[4:5], s[0:1], s[4:5]
	s_andn2_b64 exec, exec, s[4:5]
	s_cbranch_execz .LBB9_35
.LBB9_13:                               ; =>This Loop Header: Depth=1
                                        ;     Child Loop BB9_16 Depth 2
                                        ;     Child Loop BB9_26 Depth 2
	v_mov_b32_e32 v18, v17
	v_cmp_lt_i64_e32 vcc, v[7:8], v[1:2]
	v_add_u32_e32 v35, v0, v25
	ds_write_b64 v33, v[17:18]
	v_mov_b32_e32 v18, v24
	ds_write_b8 v35, v17
	s_waitcnt lgkmcnt(0)
	s_and_saveexec_b64 s[10:11], vcc
	s_cbranch_execz .LBB9_23
; %bb.14:                               ;   in Loop: Header=BB9_13 Depth=1
	v_lshlrev_b64 v[20:21], 2, v[7:8]
	v_mov_b32_e32 v18, s15
	v_add_co_u32_e32 v20, vcc, s14, v20
	v_lshlrev_b64 v[22:23], 3, v[7:8]
	v_addc_co_u32_e32 v21, vcc, v18, v21, vcc
	v_mov_b32_e32 v18, s19
	v_add_co_u32_e32 v22, vcc, s18, v22
	v_addc_co_u32_e32 v23, vcc, v18, v23, vcc
	s_mov_b64 s[20:21], 0
	v_mov_b32_e32 v18, v24
	s_branch .LBB9_16
.LBB9_15:                               ;   in Loop: Header=BB9_16 Depth=2
	s_or_b64 exec, exec, s[22:23]
	s_and_b64 s[0:1], exec, s[0:1]
	s_or_b64 s[20:21], s[0:1], s[20:21]
	s_andn2_b64 exec, exec, s[20:21]
	s_cbranch_execz .LBB9_22
.LBB9_16:                               ;   Parent Loop BB9_13 Depth=1
                                        ; =>  This Inner Loop Header: Depth=2
	global_load_dword v36, v[20:21], off
	s_waitcnt vmcnt(0)
	v_subrev_u32_e32 v37, s8, v36
	v_sub_u32_e32 v36, v37, v19
	v_cmp_gt_u32_e32 vcc, 64, v36
	v_cmp_lt_u32_e64 s[0:1], 63, v36
	s_and_saveexec_b64 s[22:23], s[0:1]
	s_xor_b64 s[0:1], exec, s[22:23]
	s_cbranch_execnz .LBB9_19
; %bb.17:                               ;   in Loop: Header=BB9_16 Depth=2
	s_andn2_saveexec_b64 s[0:1], s[0:1]
	s_cbranch_execnz .LBB9_20
.LBB9_18:                               ;   in Loop: Header=BB9_16 Depth=2
	s_or_b64 exec, exec, s[0:1]
	s_mov_b64 s[0:1], -1
	s_and_saveexec_b64 s[22:23], vcc
	s_cbranch_execz .LBB9_15
	s_branch .LBB9_21
.LBB9_19:                               ;   in Loop: Header=BB9_16 Depth=2
	v_min_i32_e32 v18, v37, v18
                                        ; implicit-def: $vgpr36
	s_andn2_saveexec_b64 s[0:1], s[0:1]
	s_cbranch_execz .LBB9_18
.LBB9_20:                               ;   in Loop: Header=BB9_16 Depth=2
	global_load_dwordx2 v[37:38], v[22:23], off
	v_add_u32_e32 v39, v0, v36
	v_lshl_add_u32 v36, v36, 3, v26
	ds_write_b8 v39, v34
	s_waitcnt vmcnt(0)
	v_mul_f64 v[37:38], v[9:10], v[37:38]
	ds_write_b64 v36, v[37:38]
	s_or_b64 exec, exec, s[0:1]
	s_mov_b64 s[0:1], -1
	s_and_saveexec_b64 s[22:23], vcc
	s_cbranch_execz .LBB9_15
.LBB9_21:                               ;   in Loop: Header=BB9_16 Depth=2
	v_add_co_u32_e32 v7, vcc, 64, v7
	v_addc_co_u32_e32 v8, vcc, 0, v8, vcc
	v_add_co_u32_e32 v20, vcc, 0x100, v20
	v_addc_co_u32_e32 v21, vcc, 0, v21, vcc
	v_cmp_ge_i64_e64 s[0:1], v[7:8], v[1:2]
	v_add_co_u32_e32 v22, vcc, 0x200, v22
	v_addc_co_u32_e32 v23, vcc, 0, v23, vcc
	s_orn2_b64 s[0:1], s[0:1], exec
	s_branch .LBB9_15
.LBB9_22:                               ;   in Loop: Header=BB9_13 Depth=1
	s_or_b64 exec, exec, s[20:21]
.LBB9_23:                               ;   in Loop: Header=BB9_13 Depth=1
	s_or_b64 exec, exec, s[10:11]
	v_cmp_lt_i64_e32 vcc, v[13:14], v[3:4]
	s_waitcnt lgkmcnt(0)
	s_and_saveexec_b64 s[10:11], vcc
	s_cbranch_execz .LBB9_33
; %bb.24:                               ;   in Loop: Header=BB9_13 Depth=1
	v_lshlrev_b64 v[20:21], 2, v[13:14]
	v_mov_b32_e32 v22, s7
	v_add_co_u32_e32 v20, vcc, s6, v20
	v_addc_co_u32_e32 v21, vcc, v22, v21, vcc
	v_lshlrev_b64 v[22:23], 3, v[13:14]
	v_mov_b32_e32 v36, s17
	v_add_co_u32_e32 v22, vcc, s16, v22
	v_addc_co_u32_e32 v23, vcc, v36, v23, vcc
	s_mov_b64 s[20:21], 0
	s_branch .LBB9_26
.LBB9_25:                               ;   in Loop: Header=BB9_26 Depth=2
	s_or_b64 exec, exec, s[22:23]
	s_and_b64 s[0:1], exec, s[0:1]
	s_or_b64 s[20:21], s[0:1], s[20:21]
	s_andn2_b64 exec, exec, s[20:21]
	s_cbranch_execz .LBB9_32
.LBB9_26:                               ;   Parent Loop BB9_13 Depth=1
                                        ; =>  This Inner Loop Header: Depth=2
	global_load_dword v36, v[20:21], off
	s_waitcnt vmcnt(0)
	v_subrev_u32_e32 v37, s9, v36
	v_sub_u32_e32 v36, v37, v19
	v_cmp_gt_u32_e32 vcc, 64, v36
	v_cmp_lt_u32_e64 s[0:1], 63, v36
	s_and_saveexec_b64 s[22:23], s[0:1]
	s_xor_b64 s[0:1], exec, s[22:23]
	s_cbranch_execnz .LBB9_29
; %bb.27:                               ;   in Loop: Header=BB9_26 Depth=2
	s_andn2_saveexec_b64 s[0:1], s[0:1]
	s_cbranch_execnz .LBB9_30
.LBB9_28:                               ;   in Loop: Header=BB9_26 Depth=2
	s_or_b64 exec, exec, s[0:1]
	s_mov_b64 s[0:1], -1
	s_and_saveexec_b64 s[22:23], vcc
	s_cbranch_execz .LBB9_25
	s_branch .LBB9_31
.LBB9_29:                               ;   in Loop: Header=BB9_26 Depth=2
	v_min_i32_e32 v18, v37, v18
                                        ; implicit-def: $vgpr36
	s_andn2_saveexec_b64 s[0:1], s[0:1]
	s_cbranch_execz .LBB9_28
.LBB9_30:                               ;   in Loop: Header=BB9_26 Depth=2
	global_load_dwordx2 v[37:38], v[22:23], off
	v_lshl_add_u32 v41, v36, 3, v26
	ds_read_b64 v[39:40], v41
	v_add_u32_e32 v36, v0, v36
	s_waitcnt vmcnt(0) lgkmcnt(0)
	v_fma_f64 v[37:38], v[11:12], v[37:38], v[39:40]
	ds_write_b8 v36, v34
	ds_write_b64 v41, v[37:38]
	s_or_b64 exec, exec, s[0:1]
	s_mov_b64 s[0:1], -1
	s_and_saveexec_b64 s[22:23], vcc
	s_cbranch_execz .LBB9_25
.LBB9_31:                               ;   in Loop: Header=BB9_26 Depth=2
	v_add_co_u32_e32 v13, vcc, 64, v13
	v_addc_co_u32_e32 v14, vcc, 0, v14, vcc
	v_add_co_u32_e32 v20, vcc, 0x100, v20
	v_addc_co_u32_e32 v21, vcc, 0, v21, vcc
	v_cmp_ge_i64_e64 s[0:1], v[13:14], v[3:4]
	v_add_co_u32_e32 v22, vcc, 0x200, v22
	v_addc_co_u32_e32 v23, vcc, 0, v23, vcc
	s_orn2_b64 s[0:1], s[0:1], exec
	s_branch .LBB9_25
.LBB9_32:                               ;   in Loop: Header=BB9_13 Depth=1
	s_or_b64 exec, exec, s[20:21]
.LBB9_33:                               ;   in Loop: Header=BB9_13 Depth=1
	s_or_b64 exec, exec, s[10:11]
	s_waitcnt lgkmcnt(0)
	ds_read_u8 v19, v35
	s_waitcnt lgkmcnt(0)
	v_and_b32_e32 v20, 1, v19
	v_cmp_eq_u32_e64 s[0:1], 1, v20
	v_cmp_ne_u16_e32 vcc, 0, v19
	s_and_saveexec_b64 s[10:11], s[0:1]
	s_cbranch_execz .LBB9_12
; %bb.34:                               ;   in Loop: Header=BB9_13 Depth=1
	v_lshlrev_b64 v[19:20], 3, v[5:6]
	v_mov_b32_e32 v21, s13
	v_add_co_u32_e64 v22, s[0:1], s12, v19
	v_addc_co_u32_e64 v23, s[0:1], v21, v20, s[0:1]
	v_and_b32_e32 v20, vcc_lo, v15
	v_and_b32_e32 v19, vcc_hi, v16
	v_bcnt_u32_b32 v20, v20, 0
	v_bcnt_u32_b32 v19, v19, v20
	v_lshlrev_b32_e32 v21, 3, v19
	ds_read_b64 v[19:20], v33
	v_add_co_u32_e64 v21, s[0:1], v22, v21
	v_addc_co_u32_e64 v22, s[0:1], 0, v23, s[0:1]
	s_waitcnt lgkmcnt(0)
	global_store_dwordx2 v[21:22], v[19:20], off offset:-8
	s_branch .LBB9_12
.LBB9_35:
	s_endpgm
	.section	.rodata,"a",@progbits
	.p2align	6, 0x0
	.amdhsa_kernel _ZN9rocsparseL37csrgeam_fill_numeric_multipass_kernelILj256ELj64ElidEEvllNS_24const_host_device_scalarIT3_EEPKT1_PKT2_PKS2_S3_S6_S9_SB_S6_PS2_21rocsparse_index_base_SD_SD_bbb
		.amdhsa_group_segment_fixed_size 2304
		.amdhsa_private_segment_fixed_size 0
		.amdhsa_kernarg_size 112
		.amdhsa_user_sgpr_count 6
		.amdhsa_user_sgpr_private_segment_buffer 1
		.amdhsa_user_sgpr_dispatch_ptr 0
		.amdhsa_user_sgpr_queue_ptr 0
		.amdhsa_user_sgpr_kernarg_segment_ptr 1
		.amdhsa_user_sgpr_dispatch_id 0
		.amdhsa_user_sgpr_flat_scratch_init 0
		.amdhsa_user_sgpr_private_segment_size 0
		.amdhsa_uses_dynamic_stack 0
		.amdhsa_system_sgpr_private_segment_wavefront_offset 0
		.amdhsa_system_sgpr_workgroup_id_x 1
		.amdhsa_system_sgpr_workgroup_id_y 0
		.amdhsa_system_sgpr_workgroup_id_z 0
		.amdhsa_system_sgpr_workgroup_info 0
		.amdhsa_system_vgpr_workitem_id 0
		.amdhsa_next_free_vgpr 42
		.amdhsa_next_free_sgpr 24
		.amdhsa_reserve_vcc 1
		.amdhsa_reserve_flat_scratch 0
		.amdhsa_float_round_mode_32 0
		.amdhsa_float_round_mode_16_64 0
		.amdhsa_float_denorm_mode_32 3
		.amdhsa_float_denorm_mode_16_64 3
		.amdhsa_dx10_clamp 1
		.amdhsa_ieee_mode 1
		.amdhsa_fp16_overflow 0
		.amdhsa_exception_fp_ieee_invalid_op 0
		.amdhsa_exception_fp_denorm_src 0
		.amdhsa_exception_fp_ieee_div_zero 0
		.amdhsa_exception_fp_ieee_overflow 0
		.amdhsa_exception_fp_ieee_underflow 0
		.amdhsa_exception_fp_ieee_inexact 0
		.amdhsa_exception_int_div_zero 0
	.end_amdhsa_kernel
	.section	.text._ZN9rocsparseL37csrgeam_fill_numeric_multipass_kernelILj256ELj64ElidEEvllNS_24const_host_device_scalarIT3_EEPKT1_PKT2_PKS2_S3_S6_S9_SB_S6_PS2_21rocsparse_index_base_SD_SD_bbb,"axG",@progbits,_ZN9rocsparseL37csrgeam_fill_numeric_multipass_kernelILj256ELj64ElidEEvllNS_24const_host_device_scalarIT3_EEPKT1_PKT2_PKS2_S3_S6_S9_SB_S6_PS2_21rocsparse_index_base_SD_SD_bbb,comdat
.Lfunc_end9:
	.size	_ZN9rocsparseL37csrgeam_fill_numeric_multipass_kernelILj256ELj64ElidEEvllNS_24const_host_device_scalarIT3_EEPKT1_PKT2_PKS2_S3_S6_S9_SB_S6_PS2_21rocsparse_index_base_SD_SD_bbb, .Lfunc_end9-_ZN9rocsparseL37csrgeam_fill_numeric_multipass_kernelILj256ELj64ElidEEvllNS_24const_host_device_scalarIT3_EEPKT1_PKT2_PKS2_S3_S6_S9_SB_S6_PS2_21rocsparse_index_base_SD_SD_bbb
                                        ; -- End function
	.set _ZN9rocsparseL37csrgeam_fill_numeric_multipass_kernelILj256ELj64ElidEEvllNS_24const_host_device_scalarIT3_EEPKT1_PKT2_PKS2_S3_S6_S9_SB_S6_PS2_21rocsparse_index_base_SD_SD_bbb.num_vgpr, 42
	.set _ZN9rocsparseL37csrgeam_fill_numeric_multipass_kernelILj256ELj64ElidEEvllNS_24const_host_device_scalarIT3_EEPKT1_PKT2_PKS2_S3_S6_S9_SB_S6_PS2_21rocsparse_index_base_SD_SD_bbb.num_agpr, 0
	.set _ZN9rocsparseL37csrgeam_fill_numeric_multipass_kernelILj256ELj64ElidEEvllNS_24const_host_device_scalarIT3_EEPKT1_PKT2_PKS2_S3_S6_S9_SB_S6_PS2_21rocsparse_index_base_SD_SD_bbb.numbered_sgpr, 24
	.set _ZN9rocsparseL37csrgeam_fill_numeric_multipass_kernelILj256ELj64ElidEEvllNS_24const_host_device_scalarIT3_EEPKT1_PKT2_PKS2_S3_S6_S9_SB_S6_PS2_21rocsparse_index_base_SD_SD_bbb.num_named_barrier, 0
	.set _ZN9rocsparseL37csrgeam_fill_numeric_multipass_kernelILj256ELj64ElidEEvllNS_24const_host_device_scalarIT3_EEPKT1_PKT2_PKS2_S3_S6_S9_SB_S6_PS2_21rocsparse_index_base_SD_SD_bbb.private_seg_size, 0
	.set _ZN9rocsparseL37csrgeam_fill_numeric_multipass_kernelILj256ELj64ElidEEvllNS_24const_host_device_scalarIT3_EEPKT1_PKT2_PKS2_S3_S6_S9_SB_S6_PS2_21rocsparse_index_base_SD_SD_bbb.uses_vcc, 1
	.set _ZN9rocsparseL37csrgeam_fill_numeric_multipass_kernelILj256ELj64ElidEEvllNS_24const_host_device_scalarIT3_EEPKT1_PKT2_PKS2_S3_S6_S9_SB_S6_PS2_21rocsparse_index_base_SD_SD_bbb.uses_flat_scratch, 0
	.set _ZN9rocsparseL37csrgeam_fill_numeric_multipass_kernelILj256ELj64ElidEEvllNS_24const_host_device_scalarIT3_EEPKT1_PKT2_PKS2_S3_S6_S9_SB_S6_PS2_21rocsparse_index_base_SD_SD_bbb.has_dyn_sized_stack, 0
	.set _ZN9rocsparseL37csrgeam_fill_numeric_multipass_kernelILj256ELj64ElidEEvllNS_24const_host_device_scalarIT3_EEPKT1_PKT2_PKS2_S3_S6_S9_SB_S6_PS2_21rocsparse_index_base_SD_SD_bbb.has_recursion, 0
	.set _ZN9rocsparseL37csrgeam_fill_numeric_multipass_kernelILj256ELj64ElidEEvllNS_24const_host_device_scalarIT3_EEPKT1_PKT2_PKS2_S3_S6_S9_SB_S6_PS2_21rocsparse_index_base_SD_SD_bbb.has_indirect_call, 0
	.section	.AMDGPU.csdata,"",@progbits
; Kernel info:
; codeLenInByte = 1592
; TotalNumSgprs: 28
; NumVgprs: 42
; ScratchSize: 0
; MemoryBound: 0
; FloatMode: 240
; IeeeMode: 1
; LDSByteSize: 2304 bytes/workgroup (compile time only)
; SGPRBlocks: 3
; VGPRBlocks: 10
; NumSGPRsForWavesPerEU: 28
; NumVGPRsForWavesPerEU: 42
; Occupancy: 5
; WaveLimiterHint : 1
; COMPUTE_PGM_RSRC2:SCRATCH_EN: 0
; COMPUTE_PGM_RSRC2:USER_SGPR: 6
; COMPUTE_PGM_RSRC2:TRAP_HANDLER: 0
; COMPUTE_PGM_RSRC2:TGID_X_EN: 1
; COMPUTE_PGM_RSRC2:TGID_Y_EN: 0
; COMPUTE_PGM_RSRC2:TGID_Z_EN: 0
; COMPUTE_PGM_RSRC2:TIDIG_COMP_CNT: 0
	.section	.text._ZN9rocsparseL37csrgeam_fill_numeric_multipass_kernelILj256ELj32ElldEEvllNS_24const_host_device_scalarIT3_EEPKT1_PKT2_PKS2_S3_S6_S9_SB_S6_PS2_21rocsparse_index_base_SD_SD_bbb,"axG",@progbits,_ZN9rocsparseL37csrgeam_fill_numeric_multipass_kernelILj256ELj32ElldEEvllNS_24const_host_device_scalarIT3_EEPKT1_PKT2_PKS2_S3_S6_S9_SB_S6_PS2_21rocsparse_index_base_SD_SD_bbb,comdat
	.globl	_ZN9rocsparseL37csrgeam_fill_numeric_multipass_kernelILj256ELj32ElldEEvllNS_24const_host_device_scalarIT3_EEPKT1_PKT2_PKS2_S3_S6_S9_SB_S6_PS2_21rocsparse_index_base_SD_SD_bbb ; -- Begin function _ZN9rocsparseL37csrgeam_fill_numeric_multipass_kernelILj256ELj32ElldEEvllNS_24const_host_device_scalarIT3_EEPKT1_PKT2_PKS2_S3_S6_S9_SB_S6_PS2_21rocsparse_index_base_SD_SD_bbb
	.p2align	8
	.type	_ZN9rocsparseL37csrgeam_fill_numeric_multipass_kernelILj256ELj32ElldEEvllNS_24const_host_device_scalarIT3_EEPKT1_PKT2_PKS2_S3_S6_S9_SB_S6_PS2_21rocsparse_index_base_SD_SD_bbb,@function
_ZN9rocsparseL37csrgeam_fill_numeric_multipass_kernelILj256ELj32ElldEEvllNS_24const_host_device_scalarIT3_EEPKT1_PKT2_PKS2_S3_S6_S9_SB_S6_PS2_21rocsparse_index_base_SD_SD_bbb: ; @_ZN9rocsparseL37csrgeam_fill_numeric_multipass_kernelILj256ELj32ElldEEvllNS_24const_host_device_scalarIT3_EEPKT1_PKT2_PKS2_S3_S6_S9_SB_S6_PS2_21rocsparse_index_base_SD_SD_bbb
; %bb.0:
	s_load_dwordx4 s[8:11], s[4:5], 0x60
	s_load_dwordx2 s[12:13], s[4:5], 0x30
	s_load_dword s7, s[4:5], 0x6c
	s_load_dwordx4 s[0:3], s[4:5], 0x0
	s_load_dwordx2 s[16:17], s[4:5], 0x10
	s_waitcnt lgkmcnt(0)
	s_bitcmp1_b32 s11, 0
	s_cselect_b64 s[18:19], -1, 0
	s_bitcmp1_b32 s7, 16
	s_cselect_b64 s[14:15], -1, 0
	s_xor_b64 s[20:21], s[18:19], -1
	s_or_b64 s[20:21], s[14:15], s[20:21]
	s_and_b64 s[18:19], s[18:19], exec
	s_cselect_b32 s18, s16, 0
	s_cselect_b32 s19, s17, 0
	v_mov_b32_e32 v9, s18
	s_and_b64 vcc, exec, s[20:21]
	v_mov_b32_e32 v10, s19
	s_cbranch_vccnz .LBB10_2
; %bb.1:
	v_mov_b32_e32 v1, s16
	v_mov_b32_e32 v2, s17
	flat_load_dwordx2 v[9:10], v[1:2]
.LBB10_2:
	s_bitcmp1_b32 s7, 8
	s_cselect_b64 s[16:17], -1, 0
	s_xor_b64 s[18:19], s[16:17], -1
	s_or_b64 s[14:15], s[14:15], s[18:19]
	s_and_b64 s[16:17], s[16:17], exec
	s_cselect_b32 s16, s12, 0
	s_cselect_b32 s17, s13, 0
	v_mov_b32_e32 v11, s16
	s_and_b64 vcc, exec, s[14:15]
	v_mov_b32_e32 v12, s17
	s_cbranch_vccnz .LBB10_4
; %bb.3:
	v_mov_b32_e32 v1, s12
	v_mov_b32_e32 v2, s13
	flat_load_dwordx2 v[11:12], v[1:2]
.LBB10_4:
	s_lshl_b32 s6, s6, 3
	v_lshrrev_b32_e32 v1, 5, v0
	s_and_b32 s6, s6, 0x7fffff8
	v_or_b32_e32 v1, s6, v1
	v_mov_b32_e32 v2, 0
	v_cmp_gt_i64_e32 vcc, s[0:1], v[1:2]
	s_and_saveexec_b64 s[0:1], vcc
	s_cbranch_execz .LBB10_33
; %bb.5:
	s_load_dwordx4 s[12:15], s[4:5], 0x18
	s_load_dwordx4 s[16:19], s[4:5], 0x38
	s_load_dwordx2 s[0:1], s[4:5], 0x50
	v_lshlrev_b32_e32 v13, 3, v1
	v_mov_b32_e32 v18, s3
	v_mov_b32_e32 v17, s2
	s_waitcnt lgkmcnt(0)
	global_load_dwordx4 v[1:4], v13, s[12:13]
	global_load_dwordx4 v[5:8], v13, s[16:17]
	global_load_dwordx2 v[15:16], v13, s[0:1]
	s_waitcnt vmcnt(0)
	v_subrev_co_u32_e32 v13, vcc, s8, v1
	v_subbrev_co_u32_e32 v14, vcc, 0, v2, vcc
	v_cmp_lt_i64_e32 vcc, v[1:2], v[3:4]
	s_and_saveexec_b64 s[0:1], vcc
	s_cbranch_execz .LBB10_7
; %bb.6:
	v_lshlrev_b64 v[1:2], 3, v[13:14]
	v_mov_b32_e32 v17, s15
	v_add_co_u32_e32 v1, vcc, s14, v1
	v_addc_co_u32_e32 v2, vcc, v17, v2, vcc
	global_load_dwordx2 v[1:2], v[1:2], off
	s_waitcnt vmcnt(0)
	v_subrev_co_u32_e32 v17, vcc, s8, v1
	v_subbrev_co_u32_e32 v18, vcc, 0, v2, vcc
.LBB10_7:
	s_or_b64 exec, exec, s[0:1]
	s_load_dwordx2 s[6:7], s[4:5], 0x58
	s_load_dwordx2 s[12:13], s[4:5], 0x48
	;; [unrolled: 1-line block ×3, first 2 shown]
	v_subrev_co_u32_e32 v19, vcc, s9, v5
	v_subbrev_co_u32_e32 v20, vcc, 0, v6, vcc
	v_cmp_lt_i64_e32 vcc, v[5:6], v[7:8]
	v_mov_b32_e32 v22, s3
	s_mov_b32 s24, s9
	v_mov_b32_e32 v21, s2
	s_and_saveexec_b64 s[0:1], vcc
	s_cbranch_execz .LBB10_9
; %bb.8:
	v_lshlrev_b64 v[1:2], 3, v[19:20]
	v_mov_b32_e32 v5, s19
	v_add_co_u32_e32 v1, vcc, s18, v1
	v_addc_co_u32_e32 v2, vcc, v5, v2, vcc
	global_load_dwordx2 v[1:2], v[1:2], off
	s_waitcnt vmcnt(0)
	v_subrev_co_u32_e32 v21, vcc, s24, v1
	v_subbrev_co_u32_e32 v22, vcc, 0, v2, vcc
.LBB10_9:
	s_or_b64 exec, exec, s[0:1]
	v_subrev_co_u32_e32 v1, vcc, s8, v3
	v_subbrev_co_u32_e32 v2, vcc, 0, v4, vcc
	v_subrev_co_u32_e32 v3, vcc, s24, v7
	v_subbrev_co_u32_e32 v4, vcc, 0, v8, vcc
	;; [unrolled: 2-line block ×3, first 2 shown]
	v_cmp_lt_i64_e32 vcc, v[21:22], v[17:18]
	v_and_b32_e32 v29, 31, v0
	v_cndmask_b32_e32 v18, v18, v22, vcc
	v_cndmask_b32_e32 v17, v17, v21, vcc
	v_add_co_u32_e32 v7, vcc, v13, v29
	v_mbcnt_lo_u32_b32 v15, -1, 0
	v_addc_co_u32_e32 v8, vcc, 0, v14, vcc
	v_mbcnt_hi_u32_b32 v15, -1, v15
	v_add_co_u32_e32 v13, vcc, v19, v29
	v_and_b32_e32 v16, 64, v15
	v_addc_co_u32_e32 v14, vcc, 0, v20, vcc
	v_add_u32_e32 v16, 64, v16
	v_xor_b32_e32 v19, 16, v15
	v_xor_b32_e32 v20, 8, v15
	v_cmp_lt_i32_e32 vcc, v19, v16
	v_xor_b32_e32 v21, 4, v15
	v_cndmask_b32_e32 v19, v15, v19, vcc
	v_cmp_lt_i32_e32 vcc, v20, v16
	v_xor_b32_e32 v22, 2, v15
	v_cndmask_b32_e32 v20, v15, v20, vcc
	;; [unrolled: 3-line block ×3, first 2 shown]
	v_cmp_lt_i32_e32 vcc, v22, v16
	v_and_b32_e32 v24, 0xe0, v0
	v_cndmask_b32_e32 v22, v15, v22, vcc
	v_cmp_lt_i32_e32 vcc, v23, v16
	v_cndmask_b32_e32 v15, v15, v23, vcc
	v_lshlrev_b32_e32 v30, 3, v24
	v_xor_b32_e32 v16, 31, v29
	v_or_b32_e32 v0, 0x800, v24
	v_lshrrev_b32_e64 v31, v16, -1
	v_lshlrev_b32_e32 v32, 2, v19
	v_lshlrev_b32_e32 v33, 2, v20
	;; [unrolled: 1-line block ×5, first 2 shown]
	s_mov_b64 s[4:5], 0
	v_lshl_or_b32 v37, v29, 3, v30
	v_mov_b32_e32 v38, 1
	v_mov_b32_e32 v15, 0
	s_branch .LBB10_11
.LBB10_10:                              ;   in Loop: Header=BB10_11 Depth=1
	s_or_b64 exec, exec, s[10:11]
	ds_bpermute_b32 v16, v32, v19
	ds_bpermute_b32 v17, v32, v20
	s_bcnt1_i32_b64 s9, vcc
	v_add_co_u32_e32 v5, vcc, s9, v5
	v_addc_co_u32_e32 v6, vcc, 0, v6, vcc
	s_waitcnt lgkmcnt(0)
	v_cmp_lt_i64_e64 s[0:1], v[16:17], v[19:20]
	v_cndmask_b32_e64 v17, v20, v17, s[0:1]
	v_cndmask_b32_e64 v16, v19, v16, s[0:1]
	ds_bpermute_b32 v20, v33, v17
	ds_bpermute_b32 v19, v33, v16
	s_waitcnt lgkmcnt(0)
	v_cmp_lt_i64_e64 s[0:1], v[19:20], v[16:17]
	v_cndmask_b32_e64 v17, v17, v20, s[0:1]
	v_cndmask_b32_e64 v16, v16, v19, s[0:1]
	ds_bpermute_b32 v20, v34, v17
	ds_bpermute_b32 v19, v34, v16
	;; [unrolled: 6-line block ×4, first 2 shown]
	s_waitcnt lgkmcnt(0)
	v_cmp_lt_i64_e64 s[0:1], v[19:20], v[16:17]
	v_cndmask_b32_e64 v18, v17, v20, s[0:1]
	v_cndmask_b32_e64 v17, v16, v19, s[0:1]
	v_cmp_le_i64_e64 s[0:1], s[2:3], v[17:18]
	s_or_b64 s[4:5], s[0:1], s[4:5]
	s_andn2_b64 exec, exec, s[4:5]
	s_cbranch_execz .LBB10_33
.LBB10_11:                              ; =>This Loop Header: Depth=1
                                        ;     Child Loop BB10_14 Depth 2
                                        ;     Child Loop BB10_24 Depth 2
	v_cmp_lt_i64_e32 vcc, v[7:8], v[1:2]
	v_mov_b32_e32 v20, s3
	v_add_u32_e32 v39, v0, v29
	v_mov_b32_e32 v16, v15
	v_mov_b32_e32 v19, s2
	ds_write_b8 v39, v15
	ds_write_b64 v37, v[15:16]
	s_waitcnt lgkmcnt(0)
	s_and_saveexec_b64 s[10:11], vcc
	s_cbranch_execz .LBB10_21
; %bb.12:                               ;   in Loop: Header=BB10_11 Depth=1
	v_lshlrev_b64 v[19:20], 3, v[7:8]
	v_mov_b32_e32 v16, s15
	v_add_co_u32_e32 v21, vcc, s14, v19
	v_addc_co_u32_e32 v22, vcc, v16, v20, vcc
	v_mov_b32_e32 v16, s17
	v_add_co_u32_e32 v23, vcc, s16, v19
	v_addc_co_u32_e32 v24, vcc, v16, v20, vcc
	v_mov_b32_e32 v20, s3
	s_mov_b64 s[20:21], 0
	v_mov_b32_e32 v19, s2
	s_branch .LBB10_14
.LBB10_13:                              ;   in Loop: Header=BB10_14 Depth=2
	s_or_b64 exec, exec, s[22:23]
	s_and_b64 s[0:1], exec, s[0:1]
	s_or_b64 s[20:21], s[0:1], s[20:21]
	s_andn2_b64 exec, exec, s[20:21]
	s_cbranch_execz .LBB10_20
.LBB10_14:                              ;   Parent Loop BB10_11 Depth=1
                                        ; =>  This Inner Loop Header: Depth=2
	global_load_dwordx2 v[25:26], v[21:22], off
	s_waitcnt vmcnt(0)
	v_subrev_co_u32_e32 v27, vcc, s8, v25
	v_subbrev_co_u32_e32 v28, vcc, 0, v26, vcc
	v_sub_co_u32_e32 v25, vcc, v27, v17
	v_subb_co_u32_e32 v26, vcc, v28, v18, vcc
	v_cmp_gt_i64_e32 vcc, 32, v[25:26]
	v_cmp_lt_i64_e64 s[0:1], 31, v[25:26]
	s_and_saveexec_b64 s[22:23], s[0:1]
	s_xor_b64 s[22:23], exec, s[22:23]
	s_cbranch_execnz .LBB10_17
; %bb.15:                               ;   in Loop: Header=BB10_14 Depth=2
	s_andn2_saveexec_b64 s[0:1], s[22:23]
	s_cbranch_execnz .LBB10_18
.LBB10_16:                              ;   in Loop: Header=BB10_14 Depth=2
	s_or_b64 exec, exec, s[0:1]
	s_mov_b64 s[0:1], -1
	s_and_saveexec_b64 s[22:23], vcc
	s_cbranch_execz .LBB10_13
	s_branch .LBB10_19
.LBB10_17:                              ;   in Loop: Header=BB10_14 Depth=2
	v_cmp_lt_i64_e64 s[0:1], v[27:28], v[19:20]
                                        ; implicit-def: $vgpr25
	v_cndmask_b32_e64 v20, v20, v28, s[0:1]
	v_cndmask_b32_e64 v19, v19, v27, s[0:1]
	s_andn2_saveexec_b64 s[0:1], s[22:23]
	s_cbranch_execz .LBB10_16
.LBB10_18:                              ;   in Loop: Header=BB10_14 Depth=2
	global_load_dwordx2 v[26:27], v[23:24], off
	v_add_u32_e32 v16, v0, v25
	ds_write_b8 v16, v38
	v_lshl_add_u32 v16, v25, 3, v30
	s_waitcnt vmcnt(0)
	v_mul_f64 v[26:27], v[9:10], v[26:27]
	ds_write_b64 v16, v[26:27]
	s_or_b64 exec, exec, s[0:1]
	s_mov_b64 s[0:1], -1
	s_and_saveexec_b64 s[22:23], vcc
	s_cbranch_execz .LBB10_13
.LBB10_19:                              ;   in Loop: Header=BB10_14 Depth=2
	v_add_co_u32_e32 v7, vcc, 32, v7
	v_addc_co_u32_e32 v8, vcc, 0, v8, vcc
	v_add_co_u32_e32 v21, vcc, 0x100, v21
	v_addc_co_u32_e32 v22, vcc, 0, v22, vcc
	v_cmp_ge_i64_e64 s[0:1], v[7:8], v[1:2]
	v_add_co_u32_e32 v23, vcc, 0x100, v23
	v_addc_co_u32_e32 v24, vcc, 0, v24, vcc
	s_orn2_b64 s[0:1], s[0:1], exec
	s_branch .LBB10_13
.LBB10_20:                              ;   in Loop: Header=BB10_11 Depth=1
	s_or_b64 exec, exec, s[20:21]
.LBB10_21:                              ;   in Loop: Header=BB10_11 Depth=1
	s_or_b64 exec, exec, s[10:11]
	v_cmp_lt_i64_e32 vcc, v[13:14], v[3:4]
	s_waitcnt lgkmcnt(0)
	s_and_saveexec_b64 s[10:11], vcc
	s_cbranch_execz .LBB10_31
; %bb.22:                               ;   in Loop: Header=BB10_11 Depth=1
	v_lshlrev_b64 v[23:24], 3, v[13:14]
	v_mov_b32_e32 v16, s19
	v_add_co_u32_e32 v21, vcc, s18, v23
	v_addc_co_u32_e32 v22, vcc, v16, v24, vcc
	v_mov_b32_e32 v16, s13
	v_add_co_u32_e32 v23, vcc, s12, v23
	v_addc_co_u32_e32 v24, vcc, v16, v24, vcc
	s_mov_b64 s[20:21], 0
	s_branch .LBB10_24
.LBB10_23:                              ;   in Loop: Header=BB10_24 Depth=2
	s_or_b64 exec, exec, s[22:23]
	s_and_b64 s[0:1], exec, s[0:1]
	s_or_b64 s[20:21], s[0:1], s[20:21]
	s_andn2_b64 exec, exec, s[20:21]
	s_cbranch_execz .LBB10_30
.LBB10_24:                              ;   Parent Loop BB10_11 Depth=1
                                        ; =>  This Inner Loop Header: Depth=2
	global_load_dwordx2 v[25:26], v[21:22], off
	s_waitcnt vmcnt(0)
	v_subrev_co_u32_e32 v27, vcc, s24, v25
	v_subbrev_co_u32_e32 v28, vcc, 0, v26, vcc
	v_sub_co_u32_e32 v25, vcc, v27, v17
	v_subb_co_u32_e32 v26, vcc, v28, v18, vcc
	v_cmp_gt_i64_e32 vcc, 32, v[25:26]
	v_cmp_lt_i64_e64 s[0:1], 31, v[25:26]
	s_and_saveexec_b64 s[22:23], s[0:1]
	s_xor_b64 s[22:23], exec, s[22:23]
	s_cbranch_execnz .LBB10_27
; %bb.25:                               ;   in Loop: Header=BB10_24 Depth=2
	s_andn2_saveexec_b64 s[0:1], s[22:23]
	s_cbranch_execnz .LBB10_28
.LBB10_26:                              ;   in Loop: Header=BB10_24 Depth=2
	s_or_b64 exec, exec, s[0:1]
	s_mov_b64 s[0:1], -1
	s_and_saveexec_b64 s[22:23], vcc
	s_cbranch_execz .LBB10_23
	s_branch .LBB10_29
.LBB10_27:                              ;   in Loop: Header=BB10_24 Depth=2
	v_cmp_lt_i64_e64 s[0:1], v[27:28], v[19:20]
                                        ; implicit-def: $vgpr25
	v_cndmask_b32_e64 v20, v20, v28, s[0:1]
	v_cndmask_b32_e64 v19, v19, v27, s[0:1]
	s_andn2_saveexec_b64 s[0:1], s[22:23]
	s_cbranch_execz .LBB10_26
.LBB10_28:                              ;   in Loop: Header=BB10_24 Depth=2
	global_load_dwordx2 v[26:27], v[23:24], off
	v_lshl_add_u32 v16, v25, 3, v30
	ds_read_b64 v[40:41], v16
	v_add_u32_e32 v25, v0, v25
	s_waitcnt vmcnt(0) lgkmcnt(0)
	v_fma_f64 v[26:27], v[11:12], v[26:27], v[40:41]
	ds_write_b8 v25, v38
	ds_write_b64 v16, v[26:27]
	s_or_b64 exec, exec, s[0:1]
	s_mov_b64 s[0:1], -1
	s_and_saveexec_b64 s[22:23], vcc
	s_cbranch_execz .LBB10_23
.LBB10_29:                              ;   in Loop: Header=BB10_24 Depth=2
	v_add_co_u32_e32 v13, vcc, 32, v13
	v_addc_co_u32_e32 v14, vcc, 0, v14, vcc
	v_add_co_u32_e32 v21, vcc, 0x100, v21
	v_addc_co_u32_e32 v22, vcc, 0, v22, vcc
	v_cmp_ge_i64_e64 s[0:1], v[13:14], v[3:4]
	v_add_co_u32_e32 v23, vcc, 0x100, v23
	v_addc_co_u32_e32 v24, vcc, 0, v24, vcc
	s_orn2_b64 s[0:1], s[0:1], exec
	s_branch .LBB10_23
.LBB10_30:                              ;   in Loop: Header=BB10_11 Depth=1
	s_or_b64 exec, exec, s[20:21]
.LBB10_31:                              ;   in Loop: Header=BB10_11 Depth=1
	s_or_b64 exec, exec, s[10:11]
	s_waitcnt lgkmcnt(0)
	ds_read_u8 v16, v39
	s_waitcnt lgkmcnt(0)
	v_and_b32_e32 v17, 1, v16
	v_cmp_eq_u32_e64 s[0:1], 1, v17
	v_cmp_ne_u16_e32 vcc, 0, v16
	s_and_saveexec_b64 s[10:11], s[0:1]
	s_cbranch_execz .LBB10_10
; %bb.32:                               ;   in Loop: Header=BB10_11 Depth=1
	v_lshlrev_b64 v[16:17], 3, v[5:6]
	v_mov_b32_e32 v18, s7
	v_add_co_u32_e64 v21, s[0:1], s6, v16
	v_and_b32_e32 v16, vcc_lo, v31
	v_bcnt_u32_b32 v16, v16, 0
	v_addc_co_u32_e64 v18, s[0:1], v18, v17, s[0:1]
	v_lshlrev_b32_e32 v22, 3, v16
	ds_read_b64 v[16:17], v37
	v_add_co_u32_e64 v21, s[0:1], v21, v22
	v_addc_co_u32_e64 v22, s[0:1], 0, v18, s[0:1]
	s_waitcnt lgkmcnt(0)
	global_store_dwordx2 v[21:22], v[16:17], off offset:-8
	s_branch .LBB10_10
.LBB10_33:
	s_endpgm
	.section	.rodata,"a",@progbits
	.p2align	6, 0x0
	.amdhsa_kernel _ZN9rocsparseL37csrgeam_fill_numeric_multipass_kernelILj256ELj32ElldEEvllNS_24const_host_device_scalarIT3_EEPKT1_PKT2_PKS2_S3_S6_S9_SB_S6_PS2_21rocsparse_index_base_SD_SD_bbb
		.amdhsa_group_segment_fixed_size 2304
		.amdhsa_private_segment_fixed_size 0
		.amdhsa_kernarg_size 112
		.amdhsa_user_sgpr_count 6
		.amdhsa_user_sgpr_private_segment_buffer 1
		.amdhsa_user_sgpr_dispatch_ptr 0
		.amdhsa_user_sgpr_queue_ptr 0
		.amdhsa_user_sgpr_kernarg_segment_ptr 1
		.amdhsa_user_sgpr_dispatch_id 0
		.amdhsa_user_sgpr_flat_scratch_init 0
		.amdhsa_user_sgpr_private_segment_size 0
		.amdhsa_uses_dynamic_stack 0
		.amdhsa_system_sgpr_private_segment_wavefront_offset 0
		.amdhsa_system_sgpr_workgroup_id_x 1
		.amdhsa_system_sgpr_workgroup_id_y 0
		.amdhsa_system_sgpr_workgroup_id_z 0
		.amdhsa_system_sgpr_workgroup_info 0
		.amdhsa_system_vgpr_workitem_id 0
		.amdhsa_next_free_vgpr 42
		.amdhsa_next_free_sgpr 25
		.amdhsa_reserve_vcc 1
		.amdhsa_reserve_flat_scratch 0
		.amdhsa_float_round_mode_32 0
		.amdhsa_float_round_mode_16_64 0
		.amdhsa_float_denorm_mode_32 3
		.amdhsa_float_denorm_mode_16_64 3
		.amdhsa_dx10_clamp 1
		.amdhsa_ieee_mode 1
		.amdhsa_fp16_overflow 0
		.amdhsa_exception_fp_ieee_invalid_op 0
		.amdhsa_exception_fp_denorm_src 0
		.amdhsa_exception_fp_ieee_div_zero 0
		.amdhsa_exception_fp_ieee_overflow 0
		.amdhsa_exception_fp_ieee_underflow 0
		.amdhsa_exception_fp_ieee_inexact 0
		.amdhsa_exception_int_div_zero 0
	.end_amdhsa_kernel
	.section	.text._ZN9rocsparseL37csrgeam_fill_numeric_multipass_kernelILj256ELj32ElldEEvllNS_24const_host_device_scalarIT3_EEPKT1_PKT2_PKS2_S3_S6_S9_SB_S6_PS2_21rocsparse_index_base_SD_SD_bbb,"axG",@progbits,_ZN9rocsparseL37csrgeam_fill_numeric_multipass_kernelILj256ELj32ElldEEvllNS_24const_host_device_scalarIT3_EEPKT1_PKT2_PKS2_S3_S6_S9_SB_S6_PS2_21rocsparse_index_base_SD_SD_bbb,comdat
.Lfunc_end10:
	.size	_ZN9rocsparseL37csrgeam_fill_numeric_multipass_kernelILj256ELj32ElldEEvllNS_24const_host_device_scalarIT3_EEPKT1_PKT2_PKS2_S3_S6_S9_SB_S6_PS2_21rocsparse_index_base_SD_SD_bbb, .Lfunc_end10-_ZN9rocsparseL37csrgeam_fill_numeric_multipass_kernelILj256ELj32ElldEEvllNS_24const_host_device_scalarIT3_EEPKT1_PKT2_PKS2_S3_S6_S9_SB_S6_PS2_21rocsparse_index_base_SD_SD_bbb
                                        ; -- End function
	.set _ZN9rocsparseL37csrgeam_fill_numeric_multipass_kernelILj256ELj32ElldEEvllNS_24const_host_device_scalarIT3_EEPKT1_PKT2_PKS2_S3_S6_S9_SB_S6_PS2_21rocsparse_index_base_SD_SD_bbb.num_vgpr, 42
	.set _ZN9rocsparseL37csrgeam_fill_numeric_multipass_kernelILj256ELj32ElldEEvllNS_24const_host_device_scalarIT3_EEPKT1_PKT2_PKS2_S3_S6_S9_SB_S6_PS2_21rocsparse_index_base_SD_SD_bbb.num_agpr, 0
	.set _ZN9rocsparseL37csrgeam_fill_numeric_multipass_kernelILj256ELj32ElldEEvllNS_24const_host_device_scalarIT3_EEPKT1_PKT2_PKS2_S3_S6_S9_SB_S6_PS2_21rocsparse_index_base_SD_SD_bbb.numbered_sgpr, 25
	.set _ZN9rocsparseL37csrgeam_fill_numeric_multipass_kernelILj256ELj32ElldEEvllNS_24const_host_device_scalarIT3_EEPKT1_PKT2_PKS2_S3_S6_S9_SB_S6_PS2_21rocsparse_index_base_SD_SD_bbb.num_named_barrier, 0
	.set _ZN9rocsparseL37csrgeam_fill_numeric_multipass_kernelILj256ELj32ElldEEvllNS_24const_host_device_scalarIT3_EEPKT1_PKT2_PKS2_S3_S6_S9_SB_S6_PS2_21rocsparse_index_base_SD_SD_bbb.private_seg_size, 0
	.set _ZN9rocsparseL37csrgeam_fill_numeric_multipass_kernelILj256ELj32ElldEEvllNS_24const_host_device_scalarIT3_EEPKT1_PKT2_PKS2_S3_S6_S9_SB_S6_PS2_21rocsparse_index_base_SD_SD_bbb.uses_vcc, 1
	.set _ZN9rocsparseL37csrgeam_fill_numeric_multipass_kernelILj256ELj32ElldEEvllNS_24const_host_device_scalarIT3_EEPKT1_PKT2_PKS2_S3_S6_S9_SB_S6_PS2_21rocsparse_index_base_SD_SD_bbb.uses_flat_scratch, 0
	.set _ZN9rocsparseL37csrgeam_fill_numeric_multipass_kernelILj256ELj32ElldEEvllNS_24const_host_device_scalarIT3_EEPKT1_PKT2_PKS2_S3_S6_S9_SB_S6_PS2_21rocsparse_index_base_SD_SD_bbb.has_dyn_sized_stack, 0
	.set _ZN9rocsparseL37csrgeam_fill_numeric_multipass_kernelILj256ELj32ElldEEvllNS_24const_host_device_scalarIT3_EEPKT1_PKT2_PKS2_S3_S6_S9_SB_S6_PS2_21rocsparse_index_base_SD_SD_bbb.has_recursion, 0
	.set _ZN9rocsparseL37csrgeam_fill_numeric_multipass_kernelILj256ELj32ElldEEvllNS_24const_host_device_scalarIT3_EEPKT1_PKT2_PKS2_S3_S6_S9_SB_S6_PS2_21rocsparse_index_base_SD_SD_bbb.has_indirect_call, 0
	.section	.AMDGPU.csdata,"",@progbits
; Kernel info:
; codeLenInByte = 1704
; TotalNumSgprs: 29
; NumVgprs: 42
; ScratchSize: 0
; MemoryBound: 0
; FloatMode: 240
; IeeeMode: 1
; LDSByteSize: 2304 bytes/workgroup (compile time only)
; SGPRBlocks: 3
; VGPRBlocks: 10
; NumSGPRsForWavesPerEU: 29
; NumVGPRsForWavesPerEU: 42
; Occupancy: 5
; WaveLimiterHint : 1
; COMPUTE_PGM_RSRC2:SCRATCH_EN: 0
; COMPUTE_PGM_RSRC2:USER_SGPR: 6
; COMPUTE_PGM_RSRC2:TRAP_HANDLER: 0
; COMPUTE_PGM_RSRC2:TGID_X_EN: 1
; COMPUTE_PGM_RSRC2:TGID_Y_EN: 0
; COMPUTE_PGM_RSRC2:TGID_Z_EN: 0
; COMPUTE_PGM_RSRC2:TIDIG_COMP_CNT: 0
	.section	.text._ZN9rocsparseL37csrgeam_fill_numeric_multipass_kernelILj256ELj64ElldEEvllNS_24const_host_device_scalarIT3_EEPKT1_PKT2_PKS2_S3_S6_S9_SB_S6_PS2_21rocsparse_index_base_SD_SD_bbb,"axG",@progbits,_ZN9rocsparseL37csrgeam_fill_numeric_multipass_kernelILj256ELj64ElldEEvllNS_24const_host_device_scalarIT3_EEPKT1_PKT2_PKS2_S3_S6_S9_SB_S6_PS2_21rocsparse_index_base_SD_SD_bbb,comdat
	.globl	_ZN9rocsparseL37csrgeam_fill_numeric_multipass_kernelILj256ELj64ElldEEvllNS_24const_host_device_scalarIT3_EEPKT1_PKT2_PKS2_S3_S6_S9_SB_S6_PS2_21rocsparse_index_base_SD_SD_bbb ; -- Begin function _ZN9rocsparseL37csrgeam_fill_numeric_multipass_kernelILj256ELj64ElldEEvllNS_24const_host_device_scalarIT3_EEPKT1_PKT2_PKS2_S3_S6_S9_SB_S6_PS2_21rocsparse_index_base_SD_SD_bbb
	.p2align	8
	.type	_ZN9rocsparseL37csrgeam_fill_numeric_multipass_kernelILj256ELj64ElldEEvllNS_24const_host_device_scalarIT3_EEPKT1_PKT2_PKS2_S3_S6_S9_SB_S6_PS2_21rocsparse_index_base_SD_SD_bbb,@function
_ZN9rocsparseL37csrgeam_fill_numeric_multipass_kernelILj256ELj64ElldEEvllNS_24const_host_device_scalarIT3_EEPKT1_PKT2_PKS2_S3_S6_S9_SB_S6_PS2_21rocsparse_index_base_SD_SD_bbb: ; @_ZN9rocsparseL37csrgeam_fill_numeric_multipass_kernelILj256ELj64ElldEEvllNS_24const_host_device_scalarIT3_EEPKT1_PKT2_PKS2_S3_S6_S9_SB_S6_PS2_21rocsparse_index_base_SD_SD_bbb
; %bb.0:
	s_load_dwordx4 s[8:11], s[4:5], 0x60
	s_load_dwordx2 s[12:13], s[4:5], 0x30
	s_load_dword s7, s[4:5], 0x6c
	s_load_dwordx4 s[0:3], s[4:5], 0x0
	s_load_dwordx2 s[16:17], s[4:5], 0x10
	s_waitcnt lgkmcnt(0)
	s_bitcmp1_b32 s11, 0
	s_cselect_b64 s[18:19], -1, 0
	s_bitcmp1_b32 s7, 16
	s_cselect_b64 s[14:15], -1, 0
	s_xor_b64 s[20:21], s[18:19], -1
	s_or_b64 s[20:21], s[14:15], s[20:21]
	s_and_b64 s[18:19], s[18:19], exec
	s_cselect_b32 s18, s16, 0
	s_cselect_b32 s19, s17, 0
	v_mov_b32_e32 v9, s18
	s_and_b64 vcc, exec, s[20:21]
	v_mov_b32_e32 v10, s19
	s_cbranch_vccnz .LBB11_2
; %bb.1:
	v_mov_b32_e32 v1, s16
	v_mov_b32_e32 v2, s17
	flat_load_dwordx2 v[9:10], v[1:2]
.LBB11_2:
	s_bitcmp1_b32 s7, 8
	s_cselect_b64 s[16:17], -1, 0
	s_xor_b64 s[18:19], s[16:17], -1
	s_or_b64 s[14:15], s[14:15], s[18:19]
	s_and_b64 s[16:17], s[16:17], exec
	s_cselect_b32 s16, s12, 0
	s_cselect_b32 s17, s13, 0
	v_mov_b32_e32 v11, s16
	s_and_b64 vcc, exec, s[14:15]
	v_mov_b32_e32 v12, s17
	s_cbranch_vccnz .LBB11_4
; %bb.3:
	v_mov_b32_e32 v1, s12
	v_mov_b32_e32 v2, s13
	flat_load_dwordx2 v[11:12], v[1:2]
.LBB11_4:
	s_lshl_b32 s6, s6, 2
	v_lshrrev_b32_e32 v1, 6, v0
	s_and_b32 s6, s6, 0x3fffffc
	v_or_b32_e32 v1, s6, v1
	v_mov_b32_e32 v2, 0
	v_cmp_gt_i64_e32 vcc, s[0:1], v[1:2]
	s_and_saveexec_b64 s[0:1], vcc
	s_cbranch_execz .LBB11_33
; %bb.5:
	s_load_dwordx4 s[12:15], s[4:5], 0x18
	s_load_dwordx4 s[16:19], s[4:5], 0x38
	s_load_dwordx2 s[0:1], s[4:5], 0x50
	v_lshlrev_b32_e32 v13, 3, v1
	v_mov_b32_e32 v18, s3
	v_mov_b32_e32 v17, s2
	s_waitcnt lgkmcnt(0)
	global_load_dwordx4 v[1:4], v13, s[12:13]
	global_load_dwordx4 v[5:8], v13, s[16:17]
	global_load_dwordx2 v[15:16], v13, s[0:1]
	s_waitcnt vmcnt(0)
	v_subrev_co_u32_e32 v13, vcc, s8, v1
	v_subbrev_co_u32_e32 v14, vcc, 0, v2, vcc
	v_cmp_lt_i64_e32 vcc, v[1:2], v[3:4]
	s_and_saveexec_b64 s[0:1], vcc
	s_cbranch_execz .LBB11_7
; %bb.6:
	v_lshlrev_b64 v[1:2], 3, v[13:14]
	v_mov_b32_e32 v17, s15
	v_add_co_u32_e32 v1, vcc, s14, v1
	v_addc_co_u32_e32 v2, vcc, v17, v2, vcc
	global_load_dwordx2 v[1:2], v[1:2], off
	s_waitcnt vmcnt(0)
	v_subrev_co_u32_e32 v17, vcc, s8, v1
	v_subbrev_co_u32_e32 v18, vcc, 0, v2, vcc
.LBB11_7:
	s_or_b64 exec, exec, s[0:1]
	s_load_dwordx2 s[6:7], s[4:5], 0x58
	s_load_dwordx2 s[12:13], s[4:5], 0x48
	;; [unrolled: 1-line block ×3, first 2 shown]
	v_subrev_co_u32_e32 v21, vcc, s9, v5
	v_subbrev_co_u32_e32 v22, vcc, 0, v6, vcc
	v_cmp_lt_i64_e32 vcc, v[5:6], v[7:8]
	v_mov_b32_e32 v20, s3
	s_mov_b32 s24, s9
	v_mov_b32_e32 v19, s2
	s_and_saveexec_b64 s[0:1], vcc
	s_cbranch_execz .LBB11_9
; %bb.8:
	v_lshlrev_b64 v[1:2], 3, v[21:22]
	v_mov_b32_e32 v5, s19
	v_add_co_u32_e32 v1, vcc, s18, v1
	v_addc_co_u32_e32 v2, vcc, v5, v2, vcc
	global_load_dwordx2 v[1:2], v[1:2], off
	s_waitcnt vmcnt(0)
	v_subrev_co_u32_e32 v19, vcc, s24, v1
	v_subbrev_co_u32_e32 v20, vcc, 0, v2, vcc
.LBB11_9:
	s_or_b64 exec, exec, s[0:1]
	v_subrev_co_u32_e32 v1, vcc, s8, v3
	v_subbrev_co_u32_e32 v2, vcc, 0, v4, vcc
	v_subrev_co_u32_e32 v3, vcc, s24, v7
	v_subbrev_co_u32_e32 v4, vcc, 0, v8, vcc
	v_subrev_co_u32_e32 v5, vcc, s10, v15
	v_subbrev_co_u32_e32 v6, vcc, 0, v16, vcc
	v_cmp_lt_i64_e32 vcc, v[19:20], v[17:18]
	v_and_b32_e32 v31, 63, v0
	v_cndmask_b32_e32 v20, v18, v20, vcc
	v_cndmask_b32_e32 v19, v17, v19, vcc
	v_add_co_u32_e32 v7, vcc, v13, v31
	v_mbcnt_lo_u32_b32 v15, -1, 0
	v_addc_co_u32_e32 v8, vcc, 0, v14, vcc
	v_mbcnt_hi_u32_b32 v15, -1, v15
	v_add_co_u32_e32 v13, vcc, v21, v31
	v_and_b32_e32 v16, 64, v15
	v_addc_co_u32_e32 v14, vcc, 0, v22, vcc
	v_add_u32_e32 v16, 64, v16
	v_xor_b32_e32 v24, 32, v15
	v_xor_b32_e32 v17, 16, v15
	v_cmp_lt_i32_e32 vcc, v24, v16
	v_xor_b32_e32 v18, 8, v15
	v_cndmask_b32_e32 v24, v15, v24, vcc
	v_cmp_lt_i32_e32 vcc, v17, v16
	v_xor_b32_e32 v21, 4, v15
	v_cndmask_b32_e32 v17, v15, v17, vcc
	;; [unrolled: 3-line block ×4, first 2 shown]
	v_cmp_lt_i32_e32 vcc, v22, v16
	v_cndmask_b32_e32 v22, v15, v22, vcc
	v_cmp_lt_i32_e32 vcc, v23, v16
	v_cndmask_b32_e32 v15, v15, v23, vcc
	v_and_b32_e32 v16, 0xc0, v0
	v_lshlrev_b32_e32 v38, 2, v15
	v_xor_b32_e32 v15, 63, v31
	v_or_b32_e32 v0, 0x800, v16
	v_lshlrev_b32_e32 v32, 3, v16
	v_lshrrev_b64 v[15:16], v15, -1
	v_lshlrev_b32_e32 v33, 2, v24
	v_lshlrev_b32_e32 v34, 2, v17
	;; [unrolled: 1-line block ×5, first 2 shown]
	s_mov_b64 s[4:5], 0
	v_lshl_or_b32 v39, v31, 3, v32
	v_mov_b32_e32 v40, 1
	v_mov_b32_e32 v17, 0
	s_branch .LBB11_11
.LBB11_10:                              ;   in Loop: Header=BB11_11 Depth=1
	s_or_b64 exec, exec, s[10:11]
	ds_bpermute_b32 v18, v33, v21
	ds_bpermute_b32 v19, v33, v22
	s_bcnt1_i32_b64 s9, vcc
	v_add_co_u32_e32 v5, vcc, s9, v5
	v_addc_co_u32_e32 v6, vcc, 0, v6, vcc
	s_waitcnt lgkmcnt(0)
	v_cmp_lt_i64_e64 s[0:1], v[18:19], v[21:22]
	v_cndmask_b32_e64 v19, v22, v19, s[0:1]
	v_cndmask_b32_e64 v18, v21, v18, s[0:1]
	ds_bpermute_b32 v22, v34, v19
	ds_bpermute_b32 v21, v34, v18
	s_waitcnt lgkmcnt(0)
	v_cmp_lt_i64_e64 s[0:1], v[21:22], v[18:19]
	v_cndmask_b32_e64 v19, v19, v22, s[0:1]
	v_cndmask_b32_e64 v18, v18, v21, s[0:1]
	ds_bpermute_b32 v22, v35, v19
	ds_bpermute_b32 v21, v35, v18
	;; [unrolled: 6-line block ×5, first 2 shown]
	s_waitcnt lgkmcnt(0)
	v_cmp_lt_i64_e64 s[0:1], v[21:22], v[18:19]
	v_cndmask_b32_e64 v20, v19, v22, s[0:1]
	v_cndmask_b32_e64 v19, v18, v21, s[0:1]
	v_cmp_le_i64_e64 s[0:1], s[2:3], v[19:20]
	s_or_b64 s[4:5], s[0:1], s[4:5]
	s_andn2_b64 exec, exec, s[4:5]
	s_cbranch_execz .LBB11_33
.LBB11_11:                              ; =>This Loop Header: Depth=1
                                        ;     Child Loop BB11_14 Depth 2
                                        ;     Child Loop BB11_24 Depth 2
	v_cmp_lt_i64_e32 vcc, v[7:8], v[1:2]
	v_mov_b32_e32 v22, s3
	v_add_u32_e32 v41, v0, v31
	v_mov_b32_e32 v18, v17
	v_mov_b32_e32 v21, s2
	ds_write_b8 v41, v17
	ds_write_b64 v39, v[17:18]
	s_waitcnt lgkmcnt(0)
	s_and_saveexec_b64 s[10:11], vcc
	s_cbranch_execz .LBB11_21
; %bb.12:                               ;   in Loop: Header=BB11_11 Depth=1
	v_lshlrev_b64 v[21:22], 3, v[7:8]
	v_mov_b32_e32 v18, s15
	v_add_co_u32_e32 v23, vcc, s14, v21
	v_addc_co_u32_e32 v24, vcc, v18, v22, vcc
	v_mov_b32_e32 v18, s17
	v_add_co_u32_e32 v25, vcc, s16, v21
	v_addc_co_u32_e32 v26, vcc, v18, v22, vcc
	v_mov_b32_e32 v22, s3
	s_mov_b64 s[20:21], 0
	v_mov_b32_e32 v21, s2
	s_branch .LBB11_14
.LBB11_13:                              ;   in Loop: Header=BB11_14 Depth=2
	s_or_b64 exec, exec, s[22:23]
	s_and_b64 s[0:1], exec, s[0:1]
	s_or_b64 s[20:21], s[0:1], s[20:21]
	s_andn2_b64 exec, exec, s[20:21]
	s_cbranch_execz .LBB11_20
.LBB11_14:                              ;   Parent Loop BB11_11 Depth=1
                                        ; =>  This Inner Loop Header: Depth=2
	global_load_dwordx2 v[27:28], v[23:24], off
	s_waitcnt vmcnt(0)
	v_subrev_co_u32_e32 v29, vcc, s8, v27
	v_subbrev_co_u32_e32 v30, vcc, 0, v28, vcc
	v_sub_co_u32_e32 v27, vcc, v29, v19
	v_subb_co_u32_e32 v28, vcc, v30, v20, vcc
	v_cmp_gt_i64_e32 vcc, 64, v[27:28]
	v_cmp_lt_i64_e64 s[0:1], 63, v[27:28]
	s_and_saveexec_b64 s[22:23], s[0:1]
	s_xor_b64 s[22:23], exec, s[22:23]
	s_cbranch_execnz .LBB11_17
; %bb.15:                               ;   in Loop: Header=BB11_14 Depth=2
	s_andn2_saveexec_b64 s[0:1], s[22:23]
	s_cbranch_execnz .LBB11_18
.LBB11_16:                              ;   in Loop: Header=BB11_14 Depth=2
	s_or_b64 exec, exec, s[0:1]
	s_mov_b64 s[0:1], -1
	s_and_saveexec_b64 s[22:23], vcc
	s_cbranch_execz .LBB11_13
	s_branch .LBB11_19
.LBB11_17:                              ;   in Loop: Header=BB11_14 Depth=2
	v_cmp_lt_i64_e64 s[0:1], v[29:30], v[21:22]
                                        ; implicit-def: $vgpr27
	v_cndmask_b32_e64 v22, v22, v30, s[0:1]
	v_cndmask_b32_e64 v21, v21, v29, s[0:1]
	s_andn2_saveexec_b64 s[0:1], s[22:23]
	s_cbranch_execz .LBB11_16
.LBB11_18:                              ;   in Loop: Header=BB11_14 Depth=2
	global_load_dwordx2 v[28:29], v[25:26], off
	v_add_u32_e32 v18, v0, v27
	ds_write_b8 v18, v40
	v_lshl_add_u32 v18, v27, 3, v32
	s_waitcnt vmcnt(0)
	v_mul_f64 v[28:29], v[9:10], v[28:29]
	ds_write_b64 v18, v[28:29]
	s_or_b64 exec, exec, s[0:1]
	s_mov_b64 s[0:1], -1
	s_and_saveexec_b64 s[22:23], vcc
	s_cbranch_execz .LBB11_13
.LBB11_19:                              ;   in Loop: Header=BB11_14 Depth=2
	v_add_co_u32_e32 v7, vcc, 64, v7
	v_addc_co_u32_e32 v8, vcc, 0, v8, vcc
	v_add_co_u32_e32 v23, vcc, 0x200, v23
	v_addc_co_u32_e32 v24, vcc, 0, v24, vcc
	v_cmp_ge_i64_e64 s[0:1], v[7:8], v[1:2]
	v_add_co_u32_e32 v25, vcc, 0x200, v25
	v_addc_co_u32_e32 v26, vcc, 0, v26, vcc
	s_orn2_b64 s[0:1], s[0:1], exec
	s_branch .LBB11_13
.LBB11_20:                              ;   in Loop: Header=BB11_11 Depth=1
	s_or_b64 exec, exec, s[20:21]
.LBB11_21:                              ;   in Loop: Header=BB11_11 Depth=1
	s_or_b64 exec, exec, s[10:11]
	v_cmp_lt_i64_e32 vcc, v[13:14], v[3:4]
	s_waitcnt lgkmcnt(0)
	s_and_saveexec_b64 s[10:11], vcc
	s_cbranch_execz .LBB11_31
; %bb.22:                               ;   in Loop: Header=BB11_11 Depth=1
	v_lshlrev_b64 v[25:26], 3, v[13:14]
	v_mov_b32_e32 v18, s19
	v_add_co_u32_e32 v23, vcc, s18, v25
	v_addc_co_u32_e32 v24, vcc, v18, v26, vcc
	v_mov_b32_e32 v18, s13
	v_add_co_u32_e32 v25, vcc, s12, v25
	v_addc_co_u32_e32 v26, vcc, v18, v26, vcc
	s_mov_b64 s[20:21], 0
	s_branch .LBB11_24
.LBB11_23:                              ;   in Loop: Header=BB11_24 Depth=2
	s_or_b64 exec, exec, s[22:23]
	s_and_b64 s[0:1], exec, s[0:1]
	s_or_b64 s[20:21], s[0:1], s[20:21]
	s_andn2_b64 exec, exec, s[20:21]
	s_cbranch_execz .LBB11_30
.LBB11_24:                              ;   Parent Loop BB11_11 Depth=1
                                        ; =>  This Inner Loop Header: Depth=2
	global_load_dwordx2 v[27:28], v[23:24], off
	s_waitcnt vmcnt(0)
	v_subrev_co_u32_e32 v29, vcc, s24, v27
	v_subbrev_co_u32_e32 v30, vcc, 0, v28, vcc
	v_sub_co_u32_e32 v27, vcc, v29, v19
	v_subb_co_u32_e32 v28, vcc, v30, v20, vcc
	v_cmp_gt_i64_e32 vcc, 64, v[27:28]
	v_cmp_lt_i64_e64 s[0:1], 63, v[27:28]
	s_and_saveexec_b64 s[22:23], s[0:1]
	s_xor_b64 s[22:23], exec, s[22:23]
	s_cbranch_execnz .LBB11_27
; %bb.25:                               ;   in Loop: Header=BB11_24 Depth=2
	s_andn2_saveexec_b64 s[0:1], s[22:23]
	s_cbranch_execnz .LBB11_28
.LBB11_26:                              ;   in Loop: Header=BB11_24 Depth=2
	s_or_b64 exec, exec, s[0:1]
	s_mov_b64 s[0:1], -1
	s_and_saveexec_b64 s[22:23], vcc
	s_cbranch_execz .LBB11_23
	s_branch .LBB11_29
.LBB11_27:                              ;   in Loop: Header=BB11_24 Depth=2
	v_cmp_lt_i64_e64 s[0:1], v[29:30], v[21:22]
                                        ; implicit-def: $vgpr27
	v_cndmask_b32_e64 v22, v22, v30, s[0:1]
	v_cndmask_b32_e64 v21, v21, v29, s[0:1]
	s_andn2_saveexec_b64 s[0:1], s[22:23]
	s_cbranch_execz .LBB11_26
.LBB11_28:                              ;   in Loop: Header=BB11_24 Depth=2
	global_load_dwordx2 v[28:29], v[25:26], off
	v_lshl_add_u32 v18, v27, 3, v32
	ds_read_b64 v[42:43], v18
	v_add_u32_e32 v27, v0, v27
	s_waitcnt vmcnt(0) lgkmcnt(0)
	v_fma_f64 v[28:29], v[11:12], v[28:29], v[42:43]
	ds_write_b8 v27, v40
	ds_write_b64 v18, v[28:29]
	s_or_b64 exec, exec, s[0:1]
	s_mov_b64 s[0:1], -1
	s_and_saveexec_b64 s[22:23], vcc
	s_cbranch_execz .LBB11_23
.LBB11_29:                              ;   in Loop: Header=BB11_24 Depth=2
	v_add_co_u32_e32 v13, vcc, 64, v13
	v_addc_co_u32_e32 v14, vcc, 0, v14, vcc
	v_add_co_u32_e32 v23, vcc, 0x200, v23
	v_addc_co_u32_e32 v24, vcc, 0, v24, vcc
	v_cmp_ge_i64_e64 s[0:1], v[13:14], v[3:4]
	v_add_co_u32_e32 v25, vcc, 0x200, v25
	v_addc_co_u32_e32 v26, vcc, 0, v26, vcc
	s_orn2_b64 s[0:1], s[0:1], exec
	s_branch .LBB11_23
.LBB11_30:                              ;   in Loop: Header=BB11_11 Depth=1
	s_or_b64 exec, exec, s[20:21]
.LBB11_31:                              ;   in Loop: Header=BB11_11 Depth=1
	s_or_b64 exec, exec, s[10:11]
	s_waitcnt lgkmcnt(0)
	ds_read_u8 v18, v41
	s_waitcnt lgkmcnt(0)
	v_and_b32_e32 v19, 1, v18
	v_cmp_eq_u32_e64 s[0:1], 1, v19
	v_cmp_ne_u16_e32 vcc, 0, v18
	s_and_saveexec_b64 s[10:11], s[0:1]
	s_cbranch_execz .LBB11_10
; %bb.32:                               ;   in Loop: Header=BB11_11 Depth=1
	v_lshlrev_b64 v[18:19], 3, v[5:6]
	v_mov_b32_e32 v20, s7
	v_add_co_u32_e64 v23, s[0:1], s6, v18
	v_addc_co_u32_e64 v20, s[0:1], v20, v19, s[0:1]
	v_and_b32_e32 v19, vcc_lo, v15
	v_and_b32_e32 v18, vcc_hi, v16
	v_bcnt_u32_b32 v19, v19, 0
	v_bcnt_u32_b32 v18, v18, v19
	v_lshlrev_b32_e32 v24, 3, v18
	ds_read_b64 v[18:19], v39
	v_add_co_u32_e64 v23, s[0:1], v23, v24
	v_addc_co_u32_e64 v24, s[0:1], 0, v20, s[0:1]
	s_waitcnt lgkmcnt(0)
	global_store_dwordx2 v[23:24], v[18:19], off offset:-8
	s_branch .LBB11_10
.LBB11_33:
	s_endpgm
	.section	.rodata,"a",@progbits
	.p2align	6, 0x0
	.amdhsa_kernel _ZN9rocsparseL37csrgeam_fill_numeric_multipass_kernelILj256ELj64ElldEEvllNS_24const_host_device_scalarIT3_EEPKT1_PKT2_PKS2_S3_S6_S9_SB_S6_PS2_21rocsparse_index_base_SD_SD_bbb
		.amdhsa_group_segment_fixed_size 2304
		.amdhsa_private_segment_fixed_size 0
		.amdhsa_kernarg_size 112
		.amdhsa_user_sgpr_count 6
		.amdhsa_user_sgpr_private_segment_buffer 1
		.amdhsa_user_sgpr_dispatch_ptr 0
		.amdhsa_user_sgpr_queue_ptr 0
		.amdhsa_user_sgpr_kernarg_segment_ptr 1
		.amdhsa_user_sgpr_dispatch_id 0
		.amdhsa_user_sgpr_flat_scratch_init 0
		.amdhsa_user_sgpr_private_segment_size 0
		.amdhsa_uses_dynamic_stack 0
		.amdhsa_system_sgpr_private_segment_wavefront_offset 0
		.amdhsa_system_sgpr_workgroup_id_x 1
		.amdhsa_system_sgpr_workgroup_id_y 0
		.amdhsa_system_sgpr_workgroup_id_z 0
		.amdhsa_system_sgpr_workgroup_info 0
		.amdhsa_system_vgpr_workitem_id 0
		.amdhsa_next_free_vgpr 44
		.amdhsa_next_free_sgpr 25
		.amdhsa_reserve_vcc 1
		.amdhsa_reserve_flat_scratch 0
		.amdhsa_float_round_mode_32 0
		.amdhsa_float_round_mode_16_64 0
		.amdhsa_float_denorm_mode_32 3
		.amdhsa_float_denorm_mode_16_64 3
		.amdhsa_dx10_clamp 1
		.amdhsa_ieee_mode 1
		.amdhsa_fp16_overflow 0
		.amdhsa_exception_fp_ieee_invalid_op 0
		.amdhsa_exception_fp_denorm_src 0
		.amdhsa_exception_fp_ieee_div_zero 0
		.amdhsa_exception_fp_ieee_overflow 0
		.amdhsa_exception_fp_ieee_underflow 0
		.amdhsa_exception_fp_ieee_inexact 0
		.amdhsa_exception_int_div_zero 0
	.end_amdhsa_kernel
	.section	.text._ZN9rocsparseL37csrgeam_fill_numeric_multipass_kernelILj256ELj64ElldEEvllNS_24const_host_device_scalarIT3_EEPKT1_PKT2_PKS2_S3_S6_S9_SB_S6_PS2_21rocsparse_index_base_SD_SD_bbb,"axG",@progbits,_ZN9rocsparseL37csrgeam_fill_numeric_multipass_kernelILj256ELj64ElldEEvllNS_24const_host_device_scalarIT3_EEPKT1_PKT2_PKS2_S3_S6_S9_SB_S6_PS2_21rocsparse_index_base_SD_SD_bbb,comdat
.Lfunc_end11:
	.size	_ZN9rocsparseL37csrgeam_fill_numeric_multipass_kernelILj256ELj64ElldEEvllNS_24const_host_device_scalarIT3_EEPKT1_PKT2_PKS2_S3_S6_S9_SB_S6_PS2_21rocsparse_index_base_SD_SD_bbb, .Lfunc_end11-_ZN9rocsparseL37csrgeam_fill_numeric_multipass_kernelILj256ELj64ElldEEvllNS_24const_host_device_scalarIT3_EEPKT1_PKT2_PKS2_S3_S6_S9_SB_S6_PS2_21rocsparse_index_base_SD_SD_bbb
                                        ; -- End function
	.set _ZN9rocsparseL37csrgeam_fill_numeric_multipass_kernelILj256ELj64ElldEEvllNS_24const_host_device_scalarIT3_EEPKT1_PKT2_PKS2_S3_S6_S9_SB_S6_PS2_21rocsparse_index_base_SD_SD_bbb.num_vgpr, 44
	.set _ZN9rocsparseL37csrgeam_fill_numeric_multipass_kernelILj256ELj64ElldEEvllNS_24const_host_device_scalarIT3_EEPKT1_PKT2_PKS2_S3_S6_S9_SB_S6_PS2_21rocsparse_index_base_SD_SD_bbb.num_agpr, 0
	.set _ZN9rocsparseL37csrgeam_fill_numeric_multipass_kernelILj256ELj64ElldEEvllNS_24const_host_device_scalarIT3_EEPKT1_PKT2_PKS2_S3_S6_S9_SB_S6_PS2_21rocsparse_index_base_SD_SD_bbb.numbered_sgpr, 25
	.set _ZN9rocsparseL37csrgeam_fill_numeric_multipass_kernelILj256ELj64ElldEEvllNS_24const_host_device_scalarIT3_EEPKT1_PKT2_PKS2_S3_S6_S9_SB_S6_PS2_21rocsparse_index_base_SD_SD_bbb.num_named_barrier, 0
	.set _ZN9rocsparseL37csrgeam_fill_numeric_multipass_kernelILj256ELj64ElldEEvllNS_24const_host_device_scalarIT3_EEPKT1_PKT2_PKS2_S3_S6_S9_SB_S6_PS2_21rocsparse_index_base_SD_SD_bbb.private_seg_size, 0
	.set _ZN9rocsparseL37csrgeam_fill_numeric_multipass_kernelILj256ELj64ElldEEvllNS_24const_host_device_scalarIT3_EEPKT1_PKT2_PKS2_S3_S6_S9_SB_S6_PS2_21rocsparse_index_base_SD_SD_bbb.uses_vcc, 1
	.set _ZN9rocsparseL37csrgeam_fill_numeric_multipass_kernelILj256ELj64ElldEEvllNS_24const_host_device_scalarIT3_EEPKT1_PKT2_PKS2_S3_S6_S9_SB_S6_PS2_21rocsparse_index_base_SD_SD_bbb.uses_flat_scratch, 0
	.set _ZN9rocsparseL37csrgeam_fill_numeric_multipass_kernelILj256ELj64ElldEEvllNS_24const_host_device_scalarIT3_EEPKT1_PKT2_PKS2_S3_S6_S9_SB_S6_PS2_21rocsparse_index_base_SD_SD_bbb.has_dyn_sized_stack, 0
	.set _ZN9rocsparseL37csrgeam_fill_numeric_multipass_kernelILj256ELj64ElldEEvllNS_24const_host_device_scalarIT3_EEPKT1_PKT2_PKS2_S3_S6_S9_SB_S6_PS2_21rocsparse_index_base_SD_SD_bbb.has_recursion, 0
	.set _ZN9rocsparseL37csrgeam_fill_numeric_multipass_kernelILj256ELj64ElldEEvllNS_24const_host_device_scalarIT3_EEPKT1_PKT2_PKS2_S3_S6_S9_SB_S6_PS2_21rocsparse_index_base_SD_SD_bbb.has_indirect_call, 0
	.section	.AMDGPU.csdata,"",@progbits
; Kernel info:
; codeLenInByte = 1776
; TotalNumSgprs: 29
; NumVgprs: 44
; ScratchSize: 0
; MemoryBound: 0
; FloatMode: 240
; IeeeMode: 1
; LDSByteSize: 2304 bytes/workgroup (compile time only)
; SGPRBlocks: 3
; VGPRBlocks: 10
; NumSGPRsForWavesPerEU: 29
; NumVGPRsForWavesPerEU: 44
; Occupancy: 5
; WaveLimiterHint : 1
; COMPUTE_PGM_RSRC2:SCRATCH_EN: 0
; COMPUTE_PGM_RSRC2:USER_SGPR: 6
; COMPUTE_PGM_RSRC2:TRAP_HANDLER: 0
; COMPUTE_PGM_RSRC2:TGID_X_EN: 1
; COMPUTE_PGM_RSRC2:TGID_Y_EN: 0
; COMPUTE_PGM_RSRC2:TGID_Z_EN: 0
; COMPUTE_PGM_RSRC2:TIDIG_COMP_CNT: 0
	.section	.text._ZN9rocsparseL37csrgeam_fill_numeric_multipass_kernelILj256ELj32Eii21rocsparse_complex_numIfEEEvllNS_24const_host_device_scalarIT3_EEPKT1_PKT2_PKS4_S5_S8_SB_SD_S8_PS4_21rocsparse_index_base_SF_SF_bbb,"axG",@progbits,_ZN9rocsparseL37csrgeam_fill_numeric_multipass_kernelILj256ELj32Eii21rocsparse_complex_numIfEEEvllNS_24const_host_device_scalarIT3_EEPKT1_PKT2_PKS4_S5_S8_SB_SD_S8_PS4_21rocsparse_index_base_SF_SF_bbb,comdat
	.globl	_ZN9rocsparseL37csrgeam_fill_numeric_multipass_kernelILj256ELj32Eii21rocsparse_complex_numIfEEEvllNS_24const_host_device_scalarIT3_EEPKT1_PKT2_PKS4_S5_S8_SB_SD_S8_PS4_21rocsparse_index_base_SF_SF_bbb ; -- Begin function _ZN9rocsparseL37csrgeam_fill_numeric_multipass_kernelILj256ELj32Eii21rocsparse_complex_numIfEEEvllNS_24const_host_device_scalarIT3_EEPKT1_PKT2_PKS4_S5_S8_SB_SD_S8_PS4_21rocsparse_index_base_SF_SF_bbb
	.p2align	8
	.type	_ZN9rocsparseL37csrgeam_fill_numeric_multipass_kernelILj256ELj32Eii21rocsparse_complex_numIfEEEvllNS_24const_host_device_scalarIT3_EEPKT1_PKT2_PKS4_S5_S8_SB_SD_S8_PS4_21rocsparse_index_base_SF_SF_bbb,@function
_ZN9rocsparseL37csrgeam_fill_numeric_multipass_kernelILj256ELj32Eii21rocsparse_complex_numIfEEEvllNS_24const_host_device_scalarIT3_EEPKT1_PKT2_PKS4_S5_S8_SB_SD_S8_PS4_21rocsparse_index_base_SF_SF_bbb: ; @_ZN9rocsparseL37csrgeam_fill_numeric_multipass_kernelILj256ELj32Eii21rocsparse_complex_numIfEEEvllNS_24const_host_device_scalarIT3_EEPKT1_PKT2_PKS4_S5_S8_SB_SD_S8_PS4_21rocsparse_index_base_SF_SF_bbb
; %bb.0:
	s_load_dword s2, s[4:5], 0x6c
	s_load_dwordx8 s[8:15], s[4:5], 0x50
	s_load_dwordx4 s[36:39], s[4:5], 0x40
	s_load_dwordx8 s[16:23], s[4:5], 0x0
	s_load_dwordx8 s[24:31], s[4:5], 0x20
	s_waitcnt lgkmcnt(0)
	s_bitcmp1_b32 s2, 16
	s_cselect_b64 s[0:1], -1, 0
	s_xor_b64 s[0:1], s[0:1], -1
	v_cndmask_b32_e64 v1, 0, 1, s[0:1]
	s_mov_b32 s33, 0
	s_bitcmp0_b32 s15, 0
	v_cmp_ne_u32_e64 s[0:1], 1, v1
	s_mov_b32 s15, 0
	s_cbranch_scc1 .LBB12_6
; %bb.1:
	s_and_b64 vcc, exec, s[0:1]
	s_mov_b32 s15, s20
	s_cbranch_vccnz .LBB12_3
; %bb.2:
	s_load_dword s15, s[20:21], 0x0
.LBB12_3:
	s_and_b64 vcc, exec, s[0:1]
	s_cbranch_vccnz .LBB12_5
; %bb.4:
	s_load_dword s21, s[20:21], 0x4
.LBB12_5:
	s_waitcnt lgkmcnt(0)
	s_mov_b32 s33, s21
.LBB12_6:
	s_bfe_u32 s2, s2, 0x10008
	s_mov_b32 s20, 0
	s_cmp_eq_u32 s2, 0
	s_mov_b32 s21, 0
	s_cbranch_scc1 .LBB12_12
; %bb.7:
	s_and_b64 vcc, exec, s[0:1]
	s_mov_b32 s20, s28
	s_cbranch_vccnz .LBB12_9
; %bb.8:
	s_load_dword s20, s[28:29], 0x0
.LBB12_9:
	s_and_b64 vcc, exec, s[0:1]
	s_cbranch_vccnz .LBB12_11
; %bb.10:
	s_load_dword s29, s[28:29], 0x4
.LBB12_11:
	s_waitcnt lgkmcnt(0)
	s_mov_b32 s21, s29
.LBB12_12:
	s_lshl_b32 s0, s6, 3
	v_lshrrev_b32_e32 v1, 5, v0
	s_and_b32 s0, s0, 0x7fffff8
	v_or_b32_e32 v1, s0, v1
	v_mov_b32_e32 v2, 0
	v_cmp_gt_i64_e32 vcc, s[16:17], v[1:2]
	s_and_saveexec_b64 s[0:1], vcc
	s_cbranch_execz .LBB12_43
; %bb.13:
	v_lshlrev_b32_e32 v5, 2, v1
	global_load_dwordx2 v[3:4], v5, s[22:23]
	global_load_dwordx2 v[1:2], v5, s[30:31]
	global_load_dword v8, v5, s[8:9]
	s_waitcnt vmcnt(2)
	v_cmp_ge_i32_e32 vcc, v3, v4
	s_and_saveexec_b64 s[0:1], vcc
	s_xor_b64 s[0:1], exec, s[0:1]
	s_or_saveexec_b64 s[0:1], s[0:1]
	v_subrev_u32_e32 v5, s12, v3
	v_mov_b32_e32 v3, s18
	s_xor_b64 exec, exec, s[0:1]
	s_cbranch_execz .LBB12_15
; %bb.14:
	v_ashrrev_i32_e32 v6, 31, v5
	v_lshlrev_b64 v[6:7], 2, v[5:6]
	v_mov_b32_e32 v3, s25
	v_add_co_u32_e32 v6, vcc, s24, v6
	v_addc_co_u32_e32 v7, vcc, v3, v7, vcc
	global_load_dword v3, v[6:7], off
	s_waitcnt vmcnt(0)
	v_subrev_u32_e32 v3, s12, v3
.LBB12_15:
	s_or_b64 exec, exec, s[0:1]
	s_waitcnt vmcnt(1)
	v_cmp_ge_i32_e32 vcc, v1, v2
	v_mov_b32_e32 v9, s18
	s_and_saveexec_b64 s[0:1], vcc
	s_xor_b64 s[0:1], exec, s[0:1]
; %bb.16:
	v_mov_b32_e32 v9, s18
; %bb.17:
	s_or_saveexec_b64 s[0:1], s[0:1]
	v_subrev_u32_e32 v6, s13, v1
	v_mov_b32_e32 v1, v9
	s_xor_b64 exec, exec, s[0:1]
	s_cbranch_execz .LBB12_19
; %bb.18:
	v_ashrrev_i32_e32 v7, 31, v6
	v_lshlrev_b64 v[10:11], 2, v[6:7]
	v_mov_b32_e32 v1, s37
	v_add_co_u32_e32 v10, vcc, s36, v10
	v_addc_co_u32_e32 v11, vcc, v1, v11, vcc
	global_load_dword v1, v[10:11], off
	s_waitcnt vmcnt(0)
	v_subrev_u32_e32 v1, s13, v1
.LBB12_19:
	s_or_b64 exec, exec, s[0:1]
	v_and_b32_e32 v7, 0xe0, v0
	v_or_b32_e32 v10, 0x800, v7
	v_lshlrev_b32_e32 v11, 3, v7
	v_min_i32_e32 v7, v1, v3
	v_mbcnt_lo_u32_b32 v1, -1, 0
	v_mbcnt_hi_u32_b32 v1, -1, v1
	v_subrev_u32_e32 v12, s12, v4
	v_and_b32_e32 v4, 31, v0
	v_and_b32_e32 v3, 64, v1
	v_add_u32_e32 v0, v5, v4
	v_add_u32_e32 v3, 64, v3
	v_xor_b32_e32 v5, 16, v1
	v_subrev_u32_e32 v13, s13, v2
	v_add_u32_e32 v2, v6, v4
	v_xor_b32_e32 v6, 8, v1
	v_cmp_lt_i32_e32 vcc, v5, v3
	s_waitcnt vmcnt(0)
	v_subrev_u32_e32 v14, s14, v8
	v_xor_b32_e32 v8, 4, v1
	v_cndmask_b32_e32 v5, v1, v5, vcc
	v_cmp_lt_i32_e32 vcc, v6, v3
	v_xor_b32_e32 v20, 2, v1
	v_lshlrev_b32_e32 v17, 2, v5
	v_cndmask_b32_e32 v5, v1, v6, vcc
	v_cmp_lt_i32_e32 vcc, v8, v3
	v_xor_b32_e32 v21, 1, v1
	v_lshlrev_b32_e32 v18, 2, v5
	v_cndmask_b32_e32 v5, v1, v8, vcc
	v_cmp_lt_i32_e32 vcc, v20, v3
	v_lshlrev_b32_e32 v19, 2, v5
	v_cndmask_b32_e32 v5, v1, v20, vcc
	v_cmp_lt_i32_e32 vcc, v21, v3
	v_lshl_or_b32 v15, v4, 3, v11
	v_xor_b32_e32 v16, 31, v4
	v_cndmask_b32_e32 v1, v1, v21, vcc
	v_add_u32_e32 v22, v10, v4
	v_mov_b32_e32 v4, 0
	v_lshrrev_b32_e64 v16, v16, -1
	v_lshlrev_b32_e32 v20, 2, v5
	v_lshlrev_b32_e32 v21, 2, v1
	s_mov_b64 s[2:3], 0
	v_mov_b32_e32 v5, v4
	v_mov_b32_e32 v6, v4
	;; [unrolled: 1-line block ×3, first 2 shown]
	s_branch .LBB12_21
.LBB12_20:                              ;   in Loop: Header=BB12_21 Depth=1
	s_or_b64 exec, exec, s[4:5]
	ds_bpermute_b32 v1, v17, v8
	s_bcnt1_i32_b64 s4, vcc
	v_add_u32_e32 v14, s4, v14
	s_waitcnt lgkmcnt(0)
	v_min_i32_e32 v1, v1, v8
	ds_bpermute_b32 v3, v18, v1
	s_waitcnt lgkmcnt(0)
	v_min_i32_e32 v1, v3, v1
	ds_bpermute_b32 v3, v19, v1
	;; [unrolled: 3-line block ×4, first 2 shown]
	s_waitcnt lgkmcnt(0)
	v_min_i32_e32 v7, v3, v1
	v_ashrrev_i32_e32 v8, 31, v7
	v_cmp_le_i64_e64 s[0:1], s[18:19], v[7:8]
	s_or_b64 s[2:3], s[0:1], s[2:3]
	s_andn2_b64 exec, exec, s[2:3]
	s_cbranch_execz .LBB12_43
.LBB12_21:                              ; =>This Loop Header: Depth=1
                                        ;     Child Loop BB12_24 Depth 2
                                        ;     Child Loop BB12_34 Depth 2
	v_cmp_lt_i32_e32 vcc, v0, v12
	v_mov_b32_e32 v8, v9
	ds_write_b8 v22, v4
	ds_write_b64 v15, v[5:6]
	s_waitcnt lgkmcnt(0)
	s_and_saveexec_b64 s[4:5], vcc
	s_cbranch_execz .LBB12_31
; %bb.22:                               ;   in Loop: Header=BB12_21 Depth=1
	s_mov_b64 s[6:7], 0
	v_mov_b32_e32 v8, v9
	s_branch .LBB12_24
.LBB12_23:                              ;   in Loop: Header=BB12_24 Depth=2
	s_or_b64 exec, exec, s[8:9]
	s_and_b64 s[0:1], exec, s[0:1]
	s_or_b64 s[6:7], s[0:1], s[6:7]
	s_andn2_b64 exec, exec, s[6:7]
	s_cbranch_execz .LBB12_30
.LBB12_24:                              ;   Parent Loop BB12_21 Depth=1
                                        ; =>  This Inner Loop Header: Depth=2
	v_ashrrev_i32_e32 v1, 31, v0
	v_lshlrev_b64 v[24:25], 2, v[0:1]
	v_mov_b32_e32 v3, s25
	v_add_co_u32_e32 v24, vcc, s24, v24
	v_addc_co_u32_e32 v25, vcc, v3, v25, vcc
	global_load_dword v3, v[24:25], off
	s_waitcnt vmcnt(0)
	v_subrev_u32_e32 v24, s12, v3
	v_sub_u32_e32 v3, v24, v7
	v_cmp_gt_u32_e32 vcc, 32, v3
	v_cmp_lt_u32_e64 s[0:1], 31, v3
	s_and_saveexec_b64 s[8:9], s[0:1]
	s_xor_b64 s[0:1], exec, s[8:9]
	s_cbranch_execnz .LBB12_27
; %bb.25:                               ;   in Loop: Header=BB12_24 Depth=2
	s_andn2_saveexec_b64 s[8:9], s[0:1]
	s_cbranch_execnz .LBB12_28
.LBB12_26:                              ;   in Loop: Header=BB12_24 Depth=2
	s_or_b64 exec, exec, s[8:9]
	s_mov_b64 s[0:1], -1
	s_and_saveexec_b64 s[8:9], vcc
	s_cbranch_execz .LBB12_23
	s_branch .LBB12_29
.LBB12_27:                              ;   in Loop: Header=BB12_24 Depth=2
	v_min_i32_e32 v8, v24, v8
                                        ; implicit-def: $vgpr3
	s_andn2_saveexec_b64 s[8:9], s[0:1]
	s_cbranch_execz .LBB12_26
.LBB12_28:                              ;   in Loop: Header=BB12_24 Depth=2
	v_lshlrev_b64 v[24:25], 3, v[0:1]
	v_mov_b32_e32 v1, s27
	v_add_co_u32_e64 v24, s[0:1], s26, v24
	v_addc_co_u32_e64 v25, s[0:1], v1, v25, s[0:1]
	global_load_dwordx2 v[24:25], v[24:25], off
	v_add_u32_e32 v1, v10, v3
	ds_write_b8 v1, v23
	v_lshl_add_u32 v1, v3, 3, v11
	s_waitcnt vmcnt(0)
	v_mul_f32_e64 v26, v25, -s33
	v_mul_f32_e32 v27, s15, v25
	v_fmac_f32_e32 v26, s15, v24
	v_fmac_f32_e32 v27, s33, v24
	ds_write_b64 v1, v[26:27]
	s_or_b64 exec, exec, s[8:9]
	s_mov_b64 s[0:1], -1
	s_and_saveexec_b64 s[8:9], vcc
	s_cbranch_execz .LBB12_23
.LBB12_29:                              ;   in Loop: Header=BB12_24 Depth=2
	v_add_u32_e32 v0, 32, v0
	v_cmp_ge_i32_e32 vcc, v0, v12
	s_orn2_b64 s[0:1], vcc, exec
	s_branch .LBB12_23
.LBB12_30:                              ;   in Loop: Header=BB12_21 Depth=1
	s_or_b64 exec, exec, s[6:7]
.LBB12_31:                              ;   in Loop: Header=BB12_21 Depth=1
	s_or_b64 exec, exec, s[4:5]
	v_cmp_lt_i32_e32 vcc, v2, v13
	s_waitcnt lgkmcnt(0)
	s_and_saveexec_b64 s[4:5], vcc
	s_cbranch_execz .LBB12_41
; %bb.32:                               ;   in Loop: Header=BB12_21 Depth=1
	s_mov_b64 s[6:7], 0
	s_branch .LBB12_34
.LBB12_33:                              ;   in Loop: Header=BB12_34 Depth=2
	s_or_b64 exec, exec, s[8:9]
	s_and_b64 s[0:1], exec, s[0:1]
	s_or_b64 s[6:7], s[0:1], s[6:7]
	s_andn2_b64 exec, exec, s[6:7]
	s_cbranch_execz .LBB12_40
.LBB12_34:                              ;   Parent Loop BB12_21 Depth=1
                                        ; =>  This Inner Loop Header: Depth=2
	v_ashrrev_i32_e32 v3, 31, v2
	v_lshlrev_b64 v[24:25], 2, v[2:3]
	v_mov_b32_e32 v1, s37
	v_add_co_u32_e32 v24, vcc, s36, v24
	v_addc_co_u32_e32 v25, vcc, v1, v25, vcc
	global_load_dword v1, v[24:25], off
	s_waitcnt vmcnt(0)
	v_subrev_u32_e32 v24, s13, v1
	v_sub_u32_e32 v1, v24, v7
	v_cmp_gt_u32_e32 vcc, 32, v1
	v_cmp_lt_u32_e64 s[0:1], 31, v1
	s_and_saveexec_b64 s[8:9], s[0:1]
	s_xor_b64 s[0:1], exec, s[8:9]
	s_cbranch_execnz .LBB12_37
; %bb.35:                               ;   in Loop: Header=BB12_34 Depth=2
	s_andn2_saveexec_b64 s[8:9], s[0:1]
	s_cbranch_execnz .LBB12_38
.LBB12_36:                              ;   in Loop: Header=BB12_34 Depth=2
	s_or_b64 exec, exec, s[8:9]
	s_mov_b64 s[0:1], -1
	s_and_saveexec_b64 s[8:9], vcc
	s_cbranch_execz .LBB12_33
	s_branch .LBB12_39
.LBB12_37:                              ;   in Loop: Header=BB12_34 Depth=2
	v_min_i32_e32 v8, v24, v8
                                        ; implicit-def: $vgpr1
	s_andn2_saveexec_b64 s[8:9], s[0:1]
	s_cbranch_execz .LBB12_36
.LBB12_38:                              ;   in Loop: Header=BB12_34 Depth=2
	v_lshlrev_b64 v[24:25], 3, v[2:3]
	v_mov_b32_e32 v3, s39
	v_add_co_u32_e64 v24, s[0:1], s38, v24
	v_addc_co_u32_e64 v25, s[0:1], v3, v25, s[0:1]
	global_load_dwordx2 v[24:25], v[24:25], off
	v_lshl_add_u32 v3, v1, 3, v11
	ds_read_b64 v[26:27], v3
	v_add_u32_e32 v1, v10, v1
	ds_write_b8 v1, v23
	s_waitcnt vmcnt(0) lgkmcnt(1)
	v_fma_f32 v1, s20, v24, v26
	v_fmac_f32_e32 v27, s21, v24
	v_fma_f32 v26, -s21, v25, v1
	v_fmac_f32_e32 v27, s20, v25
	ds_write_b64 v3, v[26:27]
	s_or_b64 exec, exec, s[8:9]
	s_mov_b64 s[0:1], -1
	s_and_saveexec_b64 s[8:9], vcc
	s_cbranch_execz .LBB12_33
.LBB12_39:                              ;   in Loop: Header=BB12_34 Depth=2
	v_add_u32_e32 v2, 32, v2
	v_cmp_ge_i32_e32 vcc, v2, v13
	s_orn2_b64 s[0:1], vcc, exec
	s_branch .LBB12_33
.LBB12_40:                              ;   in Loop: Header=BB12_21 Depth=1
	s_or_b64 exec, exec, s[6:7]
.LBB12_41:                              ;   in Loop: Header=BB12_21 Depth=1
	s_or_b64 exec, exec, s[4:5]
	s_waitcnt lgkmcnt(0)
	ds_read_u8 v1, v22
	s_waitcnt lgkmcnt(0)
	v_and_b32_e32 v3, 1, v1
	v_cmp_eq_u32_e64 s[0:1], 1, v3
	v_cmp_ne_u16_e32 vcc, 0, v1
	s_and_saveexec_b64 s[4:5], s[0:1]
	s_cbranch_execz .LBB12_20
; %bb.42:                               ;   in Loop: Header=BB12_21 Depth=1
	v_and_b32_e32 v1, vcc_lo, v16
	v_bcnt_u32_b32 v1, v1, 0
	v_add3_u32 v3, v14, v1, -1
	ds_read_b64 v[26:27], v15
	v_lshlrev_b64 v[24:25], 3, v[3:4]
	v_mov_b32_e32 v1, s11
	v_add_co_u32_e64 v24, s[0:1], s10, v24
	v_addc_co_u32_e64 v25, s[0:1], v1, v25, s[0:1]
	s_waitcnt lgkmcnt(0)
	global_store_dwordx2 v[24:25], v[26:27], off
	s_branch .LBB12_20
.LBB12_43:
	s_endpgm
	.section	.rodata,"a",@progbits
	.p2align	6, 0x0
	.amdhsa_kernel _ZN9rocsparseL37csrgeam_fill_numeric_multipass_kernelILj256ELj32Eii21rocsparse_complex_numIfEEEvllNS_24const_host_device_scalarIT3_EEPKT1_PKT2_PKS4_S5_S8_SB_SD_S8_PS4_21rocsparse_index_base_SF_SF_bbb
		.amdhsa_group_segment_fixed_size 2304
		.amdhsa_private_segment_fixed_size 0
		.amdhsa_kernarg_size 112
		.amdhsa_user_sgpr_count 6
		.amdhsa_user_sgpr_private_segment_buffer 1
		.amdhsa_user_sgpr_dispatch_ptr 0
		.amdhsa_user_sgpr_queue_ptr 0
		.amdhsa_user_sgpr_kernarg_segment_ptr 1
		.amdhsa_user_sgpr_dispatch_id 0
		.amdhsa_user_sgpr_flat_scratch_init 0
		.amdhsa_user_sgpr_private_segment_size 0
		.amdhsa_uses_dynamic_stack 0
		.amdhsa_system_sgpr_private_segment_wavefront_offset 0
		.amdhsa_system_sgpr_workgroup_id_x 1
		.amdhsa_system_sgpr_workgroup_id_y 0
		.amdhsa_system_sgpr_workgroup_id_z 0
		.amdhsa_system_sgpr_workgroup_info 0
		.amdhsa_system_vgpr_workitem_id 0
		.amdhsa_next_free_vgpr 28
		.amdhsa_next_free_sgpr 40
		.amdhsa_reserve_vcc 1
		.amdhsa_reserve_flat_scratch 0
		.amdhsa_float_round_mode_32 0
		.amdhsa_float_round_mode_16_64 0
		.amdhsa_float_denorm_mode_32 3
		.amdhsa_float_denorm_mode_16_64 3
		.amdhsa_dx10_clamp 1
		.amdhsa_ieee_mode 1
		.amdhsa_fp16_overflow 0
		.amdhsa_exception_fp_ieee_invalid_op 0
		.amdhsa_exception_fp_denorm_src 0
		.amdhsa_exception_fp_ieee_div_zero 0
		.amdhsa_exception_fp_ieee_overflow 0
		.amdhsa_exception_fp_ieee_underflow 0
		.amdhsa_exception_fp_ieee_inexact 0
		.amdhsa_exception_int_div_zero 0
	.end_amdhsa_kernel
	.section	.text._ZN9rocsparseL37csrgeam_fill_numeric_multipass_kernelILj256ELj32Eii21rocsparse_complex_numIfEEEvllNS_24const_host_device_scalarIT3_EEPKT1_PKT2_PKS4_S5_S8_SB_SD_S8_PS4_21rocsparse_index_base_SF_SF_bbb,"axG",@progbits,_ZN9rocsparseL37csrgeam_fill_numeric_multipass_kernelILj256ELj32Eii21rocsparse_complex_numIfEEEvllNS_24const_host_device_scalarIT3_EEPKT1_PKT2_PKS4_S5_S8_SB_SD_S8_PS4_21rocsparse_index_base_SF_SF_bbb,comdat
.Lfunc_end12:
	.size	_ZN9rocsparseL37csrgeam_fill_numeric_multipass_kernelILj256ELj32Eii21rocsparse_complex_numIfEEEvllNS_24const_host_device_scalarIT3_EEPKT1_PKT2_PKS4_S5_S8_SB_SD_S8_PS4_21rocsparse_index_base_SF_SF_bbb, .Lfunc_end12-_ZN9rocsparseL37csrgeam_fill_numeric_multipass_kernelILj256ELj32Eii21rocsparse_complex_numIfEEEvllNS_24const_host_device_scalarIT3_EEPKT1_PKT2_PKS4_S5_S8_SB_SD_S8_PS4_21rocsparse_index_base_SF_SF_bbb
                                        ; -- End function
	.set _ZN9rocsparseL37csrgeam_fill_numeric_multipass_kernelILj256ELj32Eii21rocsparse_complex_numIfEEEvllNS_24const_host_device_scalarIT3_EEPKT1_PKT2_PKS4_S5_S8_SB_SD_S8_PS4_21rocsparse_index_base_SF_SF_bbb.num_vgpr, 28
	.set _ZN9rocsparseL37csrgeam_fill_numeric_multipass_kernelILj256ELj32Eii21rocsparse_complex_numIfEEEvllNS_24const_host_device_scalarIT3_EEPKT1_PKT2_PKS4_S5_S8_SB_SD_S8_PS4_21rocsparse_index_base_SF_SF_bbb.num_agpr, 0
	.set _ZN9rocsparseL37csrgeam_fill_numeric_multipass_kernelILj256ELj32Eii21rocsparse_complex_numIfEEEvllNS_24const_host_device_scalarIT3_EEPKT1_PKT2_PKS4_S5_S8_SB_SD_S8_PS4_21rocsparse_index_base_SF_SF_bbb.numbered_sgpr, 40
	.set _ZN9rocsparseL37csrgeam_fill_numeric_multipass_kernelILj256ELj32Eii21rocsparse_complex_numIfEEEvllNS_24const_host_device_scalarIT3_EEPKT1_PKT2_PKS4_S5_S8_SB_SD_S8_PS4_21rocsparse_index_base_SF_SF_bbb.num_named_barrier, 0
	.set _ZN9rocsparseL37csrgeam_fill_numeric_multipass_kernelILj256ELj32Eii21rocsparse_complex_numIfEEEvllNS_24const_host_device_scalarIT3_EEPKT1_PKT2_PKS4_S5_S8_SB_SD_S8_PS4_21rocsparse_index_base_SF_SF_bbb.private_seg_size, 0
	.set _ZN9rocsparseL37csrgeam_fill_numeric_multipass_kernelILj256ELj32Eii21rocsparse_complex_numIfEEEvllNS_24const_host_device_scalarIT3_EEPKT1_PKT2_PKS4_S5_S8_SB_SD_S8_PS4_21rocsparse_index_base_SF_SF_bbb.uses_vcc, 1
	.set _ZN9rocsparseL37csrgeam_fill_numeric_multipass_kernelILj256ELj32Eii21rocsparse_complex_numIfEEEvllNS_24const_host_device_scalarIT3_EEPKT1_PKT2_PKS4_S5_S8_SB_SD_S8_PS4_21rocsparse_index_base_SF_SF_bbb.uses_flat_scratch, 0
	.set _ZN9rocsparseL37csrgeam_fill_numeric_multipass_kernelILj256ELj32Eii21rocsparse_complex_numIfEEEvllNS_24const_host_device_scalarIT3_EEPKT1_PKT2_PKS4_S5_S8_SB_SD_S8_PS4_21rocsparse_index_base_SF_SF_bbb.has_dyn_sized_stack, 0
	.set _ZN9rocsparseL37csrgeam_fill_numeric_multipass_kernelILj256ELj32Eii21rocsparse_complex_numIfEEEvllNS_24const_host_device_scalarIT3_EEPKT1_PKT2_PKS4_S5_S8_SB_SD_S8_PS4_21rocsparse_index_base_SF_SF_bbb.has_recursion, 0
	.set _ZN9rocsparseL37csrgeam_fill_numeric_multipass_kernelILj256ELj32Eii21rocsparse_complex_numIfEEEvllNS_24const_host_device_scalarIT3_EEPKT1_PKT2_PKS4_S5_S8_SB_SD_S8_PS4_21rocsparse_index_base_SF_SF_bbb.has_indirect_call, 0
	.section	.AMDGPU.csdata,"",@progbits
; Kernel info:
; codeLenInByte = 1464
; TotalNumSgprs: 44
; NumVgprs: 28
; ScratchSize: 0
; MemoryBound: 0
; FloatMode: 240
; IeeeMode: 1
; LDSByteSize: 2304 bytes/workgroup (compile time only)
; SGPRBlocks: 5
; VGPRBlocks: 6
; NumSGPRsForWavesPerEU: 44
; NumVGPRsForWavesPerEU: 28
; Occupancy: 9
; WaveLimiterHint : 1
; COMPUTE_PGM_RSRC2:SCRATCH_EN: 0
; COMPUTE_PGM_RSRC2:USER_SGPR: 6
; COMPUTE_PGM_RSRC2:TRAP_HANDLER: 0
; COMPUTE_PGM_RSRC2:TGID_X_EN: 1
; COMPUTE_PGM_RSRC2:TGID_Y_EN: 0
; COMPUTE_PGM_RSRC2:TGID_Z_EN: 0
; COMPUTE_PGM_RSRC2:TIDIG_COMP_CNT: 0
	.section	.text._ZN9rocsparseL37csrgeam_fill_numeric_multipass_kernelILj256ELj64Eii21rocsparse_complex_numIfEEEvllNS_24const_host_device_scalarIT3_EEPKT1_PKT2_PKS4_S5_S8_SB_SD_S8_PS4_21rocsparse_index_base_SF_SF_bbb,"axG",@progbits,_ZN9rocsparseL37csrgeam_fill_numeric_multipass_kernelILj256ELj64Eii21rocsparse_complex_numIfEEEvllNS_24const_host_device_scalarIT3_EEPKT1_PKT2_PKS4_S5_S8_SB_SD_S8_PS4_21rocsparse_index_base_SF_SF_bbb,comdat
	.globl	_ZN9rocsparseL37csrgeam_fill_numeric_multipass_kernelILj256ELj64Eii21rocsparse_complex_numIfEEEvllNS_24const_host_device_scalarIT3_EEPKT1_PKT2_PKS4_S5_S8_SB_SD_S8_PS4_21rocsparse_index_base_SF_SF_bbb ; -- Begin function _ZN9rocsparseL37csrgeam_fill_numeric_multipass_kernelILj256ELj64Eii21rocsparse_complex_numIfEEEvllNS_24const_host_device_scalarIT3_EEPKT1_PKT2_PKS4_S5_S8_SB_SD_S8_PS4_21rocsparse_index_base_SF_SF_bbb
	.p2align	8
	.type	_ZN9rocsparseL37csrgeam_fill_numeric_multipass_kernelILj256ELj64Eii21rocsparse_complex_numIfEEEvllNS_24const_host_device_scalarIT3_EEPKT1_PKT2_PKS4_S5_S8_SB_SD_S8_PS4_21rocsparse_index_base_SF_SF_bbb,@function
_ZN9rocsparseL37csrgeam_fill_numeric_multipass_kernelILj256ELj64Eii21rocsparse_complex_numIfEEEvllNS_24const_host_device_scalarIT3_EEPKT1_PKT2_PKS4_S5_S8_SB_SD_S8_PS4_21rocsparse_index_base_SF_SF_bbb: ; @_ZN9rocsparseL37csrgeam_fill_numeric_multipass_kernelILj256ELj64Eii21rocsparse_complex_numIfEEEvllNS_24const_host_device_scalarIT3_EEPKT1_PKT2_PKS4_S5_S8_SB_SD_S8_PS4_21rocsparse_index_base_SF_SF_bbb
; %bb.0:
	s_load_dword s2, s[4:5], 0x6c
	s_load_dwordx8 s[8:15], s[4:5], 0x50
	s_load_dwordx4 s[36:39], s[4:5], 0x40
	s_load_dwordx8 s[16:23], s[4:5], 0x0
	s_load_dwordx8 s[24:31], s[4:5], 0x20
	s_waitcnt lgkmcnt(0)
	s_bitcmp1_b32 s2, 16
	s_cselect_b64 s[0:1], -1, 0
	s_xor_b64 s[0:1], s[0:1], -1
	v_cndmask_b32_e64 v1, 0, 1, s[0:1]
	s_mov_b32 s33, 0
	s_bitcmp0_b32 s15, 0
	v_cmp_ne_u32_e64 s[0:1], 1, v1
	s_mov_b32 s15, 0
	s_cbranch_scc1 .LBB13_6
; %bb.1:
	s_and_b64 vcc, exec, s[0:1]
	s_mov_b32 s15, s20
	s_cbranch_vccnz .LBB13_3
; %bb.2:
	s_load_dword s15, s[20:21], 0x0
.LBB13_3:
	s_and_b64 vcc, exec, s[0:1]
	s_cbranch_vccnz .LBB13_5
; %bb.4:
	s_load_dword s21, s[20:21], 0x4
.LBB13_5:
	s_waitcnt lgkmcnt(0)
	s_mov_b32 s33, s21
.LBB13_6:
	s_bfe_u32 s2, s2, 0x10008
	s_mov_b32 s20, 0
	s_cmp_eq_u32 s2, 0
	s_mov_b32 s21, 0
	s_cbranch_scc1 .LBB13_12
; %bb.7:
	s_and_b64 vcc, exec, s[0:1]
	s_mov_b32 s20, s28
	s_cbranch_vccnz .LBB13_9
; %bb.8:
	s_load_dword s20, s[28:29], 0x0
.LBB13_9:
	s_and_b64 vcc, exec, s[0:1]
	s_cbranch_vccnz .LBB13_11
; %bb.10:
	s_load_dword s29, s[28:29], 0x4
.LBB13_11:
	s_waitcnt lgkmcnt(0)
	s_mov_b32 s21, s29
.LBB13_12:
	s_lshl_b32 s0, s6, 2
	v_lshrrev_b32_e32 v1, 6, v0
	s_and_b32 s0, s0, 0x3fffffc
	v_or_b32_e32 v1, s0, v1
	v_mov_b32_e32 v2, 0
	v_cmp_gt_i64_e32 vcc, s[16:17], v[1:2]
	s_and_saveexec_b64 s[0:1], vcc
	s_cbranch_execz .LBB13_43
; %bb.13:
	v_lshlrev_b32_e32 v5, 2, v1
	global_load_dwordx2 v[3:4], v5, s[22:23]
	global_load_dwordx2 v[1:2], v5, s[30:31]
	global_load_dword v8, v5, s[8:9]
	s_waitcnt vmcnt(2)
	v_cmp_ge_i32_e32 vcc, v3, v4
	s_and_saveexec_b64 s[0:1], vcc
	s_xor_b64 s[0:1], exec, s[0:1]
	s_or_saveexec_b64 s[0:1], s[0:1]
	v_subrev_u32_e32 v5, s12, v3
	v_mov_b32_e32 v3, s18
	s_xor_b64 exec, exec, s[0:1]
	s_cbranch_execz .LBB13_15
; %bb.14:
	v_ashrrev_i32_e32 v6, 31, v5
	v_lshlrev_b64 v[6:7], 2, v[5:6]
	v_mov_b32_e32 v3, s25
	v_add_co_u32_e32 v6, vcc, s24, v6
	v_addc_co_u32_e32 v7, vcc, v3, v7, vcc
	global_load_dword v3, v[6:7], off
	s_waitcnt vmcnt(0)
	v_subrev_u32_e32 v3, s12, v3
.LBB13_15:
	s_or_b64 exec, exec, s[0:1]
	s_waitcnt vmcnt(1)
	v_cmp_ge_i32_e32 vcc, v1, v2
	v_mov_b32_e32 v10, s18
	s_and_saveexec_b64 s[0:1], vcc
	s_xor_b64 s[0:1], exec, s[0:1]
; %bb.16:
	v_mov_b32_e32 v10, s18
; %bb.17:
	s_or_saveexec_b64 s[0:1], s[0:1]
	v_subrev_u32_e32 v6, s13, v1
	v_mov_b32_e32 v1, v10
	s_xor_b64 exec, exec, s[0:1]
	s_cbranch_execz .LBB13_19
; %bb.18:
	v_ashrrev_i32_e32 v7, 31, v6
	v_lshlrev_b64 v[11:12], 2, v[6:7]
	v_mov_b32_e32 v1, s37
	v_add_co_u32_e32 v11, vcc, s36, v11
	v_addc_co_u32_e32 v12, vcc, v1, v12, vcc
	global_load_dword v1, v[11:12], off
	s_waitcnt vmcnt(0)
	v_subrev_u32_e32 v1, s13, v1
.LBB13_19:
	s_or_b64 exec, exec, s[0:1]
	v_subrev_u32_e32 v13, s12, v4
	v_min_i32_e32 v4, v1, v3
	v_mbcnt_lo_u32_b32 v1, -1, 0
	v_and_b32_e32 v7, 0xc0, v0
	v_mbcnt_hi_u32_b32 v1, -1, v1
	v_or_b32_e32 v11, 0x800, v7
	v_lshlrev_b32_e32 v12, 3, v7
	v_and_b32_e32 v7, 63, v0
	v_and_b32_e32 v3, 64, v1
	v_add_u32_e32 v0, v5, v7
	v_add_u32_e32 v3, 64, v3
	v_xor_b32_e32 v5, 32, v1
	v_subrev_u32_e32 v14, s13, v2
	v_add_u32_e32 v2, v6, v7
	v_xor_b32_e32 v6, 16, v1
	v_cmp_lt_i32_e32 vcc, v5, v3
	s_waitcnt vmcnt(0)
	v_subrev_u32_e32 v15, s14, v8
	v_xor_b32_e32 v8, 8, v1
	v_cndmask_b32_e32 v5, v1, v5, vcc
	v_cmp_lt_i32_e32 vcc, v6, v3
	v_xor_b32_e32 v9, 4, v1
	v_cndmask_b32_e32 v6, v1, v6, vcc
	v_cmp_lt_i32_e32 vcc, v8, v3
	;; [unrolled: 3-line block ×4, first 2 shown]
	v_cndmask_b32_e32 v21, v1, v17, vcc
	v_cmp_lt_i32_e32 vcc, v18, v3
	v_xor_b32_e32 v3, 63, v7
	v_lshl_or_b32 v16, v7, 3, v12
	v_cndmask_b32_e32 v1, v1, v18, vcc
	v_lshlrev_b32_e32 v18, 2, v6
	v_add_u32_e32 v23, v11, v7
	v_lshrrev_b64 v[6:7], v3, -1
	v_lshlrev_b32_e32 v17, 2, v5
	v_lshlrev_b32_e32 v19, 2, v8
	;; [unrolled: 1-line block ×5, first 2 shown]
	s_mov_b64 s[2:3], 0
	v_mov_b32_e32 v24, 1
	v_mov_b32_e32 v8, 0
	s_branch .LBB13_21
.LBB13_20:                              ;   in Loop: Header=BB13_21 Depth=1
	s_or_b64 exec, exec, s[4:5]
	ds_bpermute_b32 v1, v17, v5
	s_bcnt1_i32_b64 s4, vcc
	v_add_u32_e32 v15, s4, v15
	s_waitcnt lgkmcnt(0)
	v_min_i32_e32 v1, v1, v5
	ds_bpermute_b32 v3, v18, v1
	s_waitcnt lgkmcnt(0)
	v_min_i32_e32 v1, v3, v1
	ds_bpermute_b32 v3, v19, v1
	;; [unrolled: 3-line block ×5, first 2 shown]
	s_waitcnt lgkmcnt(0)
	v_min_i32_e32 v4, v3, v1
	v_ashrrev_i32_e32 v5, 31, v4
	v_cmp_le_i64_e64 s[0:1], s[18:19], v[4:5]
	s_or_b64 s[2:3], s[0:1], s[2:3]
	s_andn2_b64 exec, exec, s[2:3]
	s_cbranch_execz .LBB13_43
.LBB13_21:                              ; =>This Loop Header: Depth=1
                                        ;     Child Loop BB13_24 Depth 2
                                        ;     Child Loop BB13_34 Depth 2
	v_mov_b32_e32 v9, v8
	v_cmp_lt_i32_e32 vcc, v0, v13
	v_mov_b32_e32 v5, v10
	ds_write_b8 v23, v8
	ds_write_b64 v16, v[8:9]
	s_waitcnt lgkmcnt(0)
	s_and_saveexec_b64 s[4:5], vcc
	s_cbranch_execz .LBB13_31
; %bb.22:                               ;   in Loop: Header=BB13_21 Depth=1
	s_mov_b64 s[6:7], 0
	v_mov_b32_e32 v5, v10
	s_branch .LBB13_24
.LBB13_23:                              ;   in Loop: Header=BB13_24 Depth=2
	s_or_b64 exec, exec, s[8:9]
	s_and_b64 s[0:1], exec, s[0:1]
	s_or_b64 s[6:7], s[0:1], s[6:7]
	s_andn2_b64 exec, exec, s[6:7]
	s_cbranch_execz .LBB13_30
.LBB13_24:                              ;   Parent Loop BB13_21 Depth=1
                                        ; =>  This Inner Loop Header: Depth=2
	v_ashrrev_i32_e32 v1, 31, v0
	v_lshlrev_b64 v[25:26], 2, v[0:1]
	v_mov_b32_e32 v3, s25
	v_add_co_u32_e32 v25, vcc, s24, v25
	v_addc_co_u32_e32 v26, vcc, v3, v26, vcc
	global_load_dword v3, v[25:26], off
	s_waitcnt vmcnt(0)
	v_subrev_u32_e32 v9, s12, v3
	v_sub_u32_e32 v3, v9, v4
	v_cmp_gt_u32_e32 vcc, 64, v3
	v_cmp_lt_u32_e64 s[0:1], 63, v3
	s_and_saveexec_b64 s[8:9], s[0:1]
	s_xor_b64 s[0:1], exec, s[8:9]
	s_cbranch_execnz .LBB13_27
; %bb.25:                               ;   in Loop: Header=BB13_24 Depth=2
	s_andn2_saveexec_b64 s[8:9], s[0:1]
	s_cbranch_execnz .LBB13_28
.LBB13_26:                              ;   in Loop: Header=BB13_24 Depth=2
	s_or_b64 exec, exec, s[8:9]
	s_mov_b64 s[0:1], -1
	s_and_saveexec_b64 s[8:9], vcc
	s_cbranch_execz .LBB13_23
	s_branch .LBB13_29
.LBB13_27:                              ;   in Loop: Header=BB13_24 Depth=2
	v_min_i32_e32 v5, v9, v5
                                        ; implicit-def: $vgpr3
	s_andn2_saveexec_b64 s[8:9], s[0:1]
	s_cbranch_execz .LBB13_26
.LBB13_28:                              ;   in Loop: Header=BB13_24 Depth=2
	v_lshlrev_b64 v[25:26], 3, v[0:1]
	v_mov_b32_e32 v1, s27
	v_add_co_u32_e64 v25, s[0:1], s26, v25
	v_addc_co_u32_e64 v26, s[0:1], v1, v26, s[0:1]
	global_load_dwordx2 v[25:26], v[25:26], off
	v_add_u32_e32 v1, v11, v3
	ds_write_b8 v1, v24
	v_lshl_add_u32 v1, v3, 3, v12
	s_waitcnt vmcnt(0)
	v_mul_f32_e64 v27, v26, -s33
	v_mul_f32_e32 v28, s15, v26
	v_fmac_f32_e32 v27, s15, v25
	v_fmac_f32_e32 v28, s33, v25
	ds_write_b64 v1, v[27:28]
	s_or_b64 exec, exec, s[8:9]
	s_mov_b64 s[0:1], -1
	s_and_saveexec_b64 s[8:9], vcc
	s_cbranch_execz .LBB13_23
.LBB13_29:                              ;   in Loop: Header=BB13_24 Depth=2
	v_add_u32_e32 v0, 64, v0
	v_cmp_ge_i32_e32 vcc, v0, v13
	s_orn2_b64 s[0:1], vcc, exec
	s_branch .LBB13_23
.LBB13_30:                              ;   in Loop: Header=BB13_21 Depth=1
	s_or_b64 exec, exec, s[6:7]
.LBB13_31:                              ;   in Loop: Header=BB13_21 Depth=1
	s_or_b64 exec, exec, s[4:5]
	v_cmp_lt_i32_e32 vcc, v2, v14
	s_waitcnt lgkmcnt(0)
	s_and_saveexec_b64 s[4:5], vcc
	s_cbranch_execz .LBB13_41
; %bb.32:                               ;   in Loop: Header=BB13_21 Depth=1
	s_mov_b64 s[6:7], 0
	s_branch .LBB13_34
.LBB13_33:                              ;   in Loop: Header=BB13_34 Depth=2
	s_or_b64 exec, exec, s[8:9]
	s_and_b64 s[0:1], exec, s[0:1]
	s_or_b64 s[6:7], s[0:1], s[6:7]
	s_andn2_b64 exec, exec, s[6:7]
	s_cbranch_execz .LBB13_40
.LBB13_34:                              ;   Parent Loop BB13_21 Depth=1
                                        ; =>  This Inner Loop Header: Depth=2
	v_ashrrev_i32_e32 v3, 31, v2
	v_lshlrev_b64 v[25:26], 2, v[2:3]
	v_mov_b32_e32 v1, s37
	v_add_co_u32_e32 v25, vcc, s36, v25
	v_addc_co_u32_e32 v26, vcc, v1, v26, vcc
	global_load_dword v1, v[25:26], off
	s_waitcnt vmcnt(0)
	v_subrev_u32_e32 v9, s13, v1
	v_sub_u32_e32 v1, v9, v4
	v_cmp_gt_u32_e32 vcc, 64, v1
	v_cmp_lt_u32_e64 s[0:1], 63, v1
	s_and_saveexec_b64 s[8:9], s[0:1]
	s_xor_b64 s[0:1], exec, s[8:9]
	s_cbranch_execnz .LBB13_37
; %bb.35:                               ;   in Loop: Header=BB13_34 Depth=2
	s_andn2_saveexec_b64 s[8:9], s[0:1]
	s_cbranch_execnz .LBB13_38
.LBB13_36:                              ;   in Loop: Header=BB13_34 Depth=2
	s_or_b64 exec, exec, s[8:9]
	s_mov_b64 s[0:1], -1
	s_and_saveexec_b64 s[8:9], vcc
	s_cbranch_execz .LBB13_33
	s_branch .LBB13_39
.LBB13_37:                              ;   in Loop: Header=BB13_34 Depth=2
	v_min_i32_e32 v5, v9, v5
                                        ; implicit-def: $vgpr1
	s_andn2_saveexec_b64 s[8:9], s[0:1]
	s_cbranch_execz .LBB13_36
.LBB13_38:                              ;   in Loop: Header=BB13_34 Depth=2
	v_lshlrev_b64 v[25:26], 3, v[2:3]
	v_mov_b32_e32 v3, s39
	v_add_co_u32_e64 v25, s[0:1], s38, v25
	v_addc_co_u32_e64 v26, s[0:1], v3, v26, s[0:1]
	global_load_dwordx2 v[25:26], v[25:26], off
	v_lshl_add_u32 v3, v1, 3, v12
	ds_read_b64 v[27:28], v3
	v_add_u32_e32 v1, v11, v1
	ds_write_b8 v1, v24
	s_waitcnt vmcnt(0) lgkmcnt(1)
	v_fma_f32 v1, s20, v25, v27
	v_fmac_f32_e32 v28, s21, v25
	v_fma_f32 v27, -s21, v26, v1
	v_fmac_f32_e32 v28, s20, v26
	ds_write_b64 v3, v[27:28]
	s_or_b64 exec, exec, s[8:9]
	s_mov_b64 s[0:1], -1
	s_and_saveexec_b64 s[8:9], vcc
	s_cbranch_execz .LBB13_33
.LBB13_39:                              ;   in Loop: Header=BB13_34 Depth=2
	v_add_u32_e32 v2, 64, v2
	v_cmp_ge_i32_e32 vcc, v2, v14
	s_orn2_b64 s[0:1], vcc, exec
	s_branch .LBB13_33
.LBB13_40:                              ;   in Loop: Header=BB13_21 Depth=1
	s_or_b64 exec, exec, s[6:7]
.LBB13_41:                              ;   in Loop: Header=BB13_21 Depth=1
	s_or_b64 exec, exec, s[4:5]
	s_waitcnt lgkmcnt(0)
	ds_read_u8 v1, v23
	s_waitcnt lgkmcnt(0)
	v_and_b32_e32 v3, 1, v1
	v_cmp_eq_u32_e64 s[0:1], 1, v3
	v_cmp_ne_u16_e32 vcc, 0, v1
	s_and_saveexec_b64 s[4:5], s[0:1]
	s_cbranch_execz .LBB13_20
; %bb.42:                               ;   in Loop: Header=BB13_21 Depth=1
	v_and_b32_e32 v3, vcc_lo, v6
	v_and_b32_e32 v1, vcc_hi, v7
	v_bcnt_u32_b32 v3, v3, 0
	v_bcnt_u32_b32 v1, v1, v3
	v_add3_u32 v3, v15, v1, -1
	v_mov_b32_e32 v4, v8
	ds_read_b64 v[25:26], v16
	v_lshlrev_b64 v[3:4], 3, v[3:4]
	v_mov_b32_e32 v1, s11
	v_add_co_u32_e64 v3, s[0:1], s10, v3
	v_addc_co_u32_e64 v4, s[0:1], v1, v4, s[0:1]
	s_waitcnt lgkmcnt(0)
	global_store_dwordx2 v[3:4], v[25:26], off
	s_branch .LBB13_20
.LBB13_43:
	s_endpgm
	.section	.rodata,"a",@progbits
	.p2align	6, 0x0
	.amdhsa_kernel _ZN9rocsparseL37csrgeam_fill_numeric_multipass_kernelILj256ELj64Eii21rocsparse_complex_numIfEEEvllNS_24const_host_device_scalarIT3_EEPKT1_PKT2_PKS4_S5_S8_SB_SD_S8_PS4_21rocsparse_index_base_SF_SF_bbb
		.amdhsa_group_segment_fixed_size 2304
		.amdhsa_private_segment_fixed_size 0
		.amdhsa_kernarg_size 112
		.amdhsa_user_sgpr_count 6
		.amdhsa_user_sgpr_private_segment_buffer 1
		.amdhsa_user_sgpr_dispatch_ptr 0
		.amdhsa_user_sgpr_queue_ptr 0
		.amdhsa_user_sgpr_kernarg_segment_ptr 1
		.amdhsa_user_sgpr_dispatch_id 0
		.amdhsa_user_sgpr_flat_scratch_init 0
		.amdhsa_user_sgpr_private_segment_size 0
		.amdhsa_uses_dynamic_stack 0
		.amdhsa_system_sgpr_private_segment_wavefront_offset 0
		.amdhsa_system_sgpr_workgroup_id_x 1
		.amdhsa_system_sgpr_workgroup_id_y 0
		.amdhsa_system_sgpr_workgroup_id_z 0
		.amdhsa_system_sgpr_workgroup_info 0
		.amdhsa_system_vgpr_workitem_id 0
		.amdhsa_next_free_vgpr 29
		.amdhsa_next_free_sgpr 40
		.amdhsa_reserve_vcc 1
		.amdhsa_reserve_flat_scratch 0
		.amdhsa_float_round_mode_32 0
		.amdhsa_float_round_mode_16_64 0
		.amdhsa_float_denorm_mode_32 3
		.amdhsa_float_denorm_mode_16_64 3
		.amdhsa_dx10_clamp 1
		.amdhsa_ieee_mode 1
		.amdhsa_fp16_overflow 0
		.amdhsa_exception_fp_ieee_invalid_op 0
		.amdhsa_exception_fp_denorm_src 0
		.amdhsa_exception_fp_ieee_div_zero 0
		.amdhsa_exception_fp_ieee_overflow 0
		.amdhsa_exception_fp_ieee_underflow 0
		.amdhsa_exception_fp_ieee_inexact 0
		.amdhsa_exception_int_div_zero 0
	.end_amdhsa_kernel
	.section	.text._ZN9rocsparseL37csrgeam_fill_numeric_multipass_kernelILj256ELj64Eii21rocsparse_complex_numIfEEEvllNS_24const_host_device_scalarIT3_EEPKT1_PKT2_PKS4_S5_S8_SB_SD_S8_PS4_21rocsparse_index_base_SF_SF_bbb,"axG",@progbits,_ZN9rocsparseL37csrgeam_fill_numeric_multipass_kernelILj256ELj64Eii21rocsparse_complex_numIfEEEvllNS_24const_host_device_scalarIT3_EEPKT1_PKT2_PKS4_S5_S8_SB_SD_S8_PS4_21rocsparse_index_base_SF_SF_bbb,comdat
.Lfunc_end13:
	.size	_ZN9rocsparseL37csrgeam_fill_numeric_multipass_kernelILj256ELj64Eii21rocsparse_complex_numIfEEEvllNS_24const_host_device_scalarIT3_EEPKT1_PKT2_PKS4_S5_S8_SB_SD_S8_PS4_21rocsparse_index_base_SF_SF_bbb, .Lfunc_end13-_ZN9rocsparseL37csrgeam_fill_numeric_multipass_kernelILj256ELj64Eii21rocsparse_complex_numIfEEEvllNS_24const_host_device_scalarIT3_EEPKT1_PKT2_PKS4_S5_S8_SB_SD_S8_PS4_21rocsparse_index_base_SF_SF_bbb
                                        ; -- End function
	.set _ZN9rocsparseL37csrgeam_fill_numeric_multipass_kernelILj256ELj64Eii21rocsparse_complex_numIfEEEvllNS_24const_host_device_scalarIT3_EEPKT1_PKT2_PKS4_S5_S8_SB_SD_S8_PS4_21rocsparse_index_base_SF_SF_bbb.num_vgpr, 29
	.set _ZN9rocsparseL37csrgeam_fill_numeric_multipass_kernelILj256ELj64Eii21rocsparse_complex_numIfEEEvllNS_24const_host_device_scalarIT3_EEPKT1_PKT2_PKS4_S5_S8_SB_SD_S8_PS4_21rocsparse_index_base_SF_SF_bbb.num_agpr, 0
	.set _ZN9rocsparseL37csrgeam_fill_numeric_multipass_kernelILj256ELj64Eii21rocsparse_complex_numIfEEEvllNS_24const_host_device_scalarIT3_EEPKT1_PKT2_PKS4_S5_S8_SB_SD_S8_PS4_21rocsparse_index_base_SF_SF_bbb.numbered_sgpr, 40
	.set _ZN9rocsparseL37csrgeam_fill_numeric_multipass_kernelILj256ELj64Eii21rocsparse_complex_numIfEEEvllNS_24const_host_device_scalarIT3_EEPKT1_PKT2_PKS4_S5_S8_SB_SD_S8_PS4_21rocsparse_index_base_SF_SF_bbb.num_named_barrier, 0
	.set _ZN9rocsparseL37csrgeam_fill_numeric_multipass_kernelILj256ELj64Eii21rocsparse_complex_numIfEEEvllNS_24const_host_device_scalarIT3_EEPKT1_PKT2_PKS4_S5_S8_SB_SD_S8_PS4_21rocsparse_index_base_SF_SF_bbb.private_seg_size, 0
	.set _ZN9rocsparseL37csrgeam_fill_numeric_multipass_kernelILj256ELj64Eii21rocsparse_complex_numIfEEEvllNS_24const_host_device_scalarIT3_EEPKT1_PKT2_PKS4_S5_S8_SB_SD_S8_PS4_21rocsparse_index_base_SF_SF_bbb.uses_vcc, 1
	.set _ZN9rocsparseL37csrgeam_fill_numeric_multipass_kernelILj256ELj64Eii21rocsparse_complex_numIfEEEvllNS_24const_host_device_scalarIT3_EEPKT1_PKT2_PKS4_S5_S8_SB_SD_S8_PS4_21rocsparse_index_base_SF_SF_bbb.uses_flat_scratch, 0
	.set _ZN9rocsparseL37csrgeam_fill_numeric_multipass_kernelILj256ELj64Eii21rocsparse_complex_numIfEEEvllNS_24const_host_device_scalarIT3_EEPKT1_PKT2_PKS4_S5_S8_SB_SD_S8_PS4_21rocsparse_index_base_SF_SF_bbb.has_dyn_sized_stack, 0
	.set _ZN9rocsparseL37csrgeam_fill_numeric_multipass_kernelILj256ELj64Eii21rocsparse_complex_numIfEEEvllNS_24const_host_device_scalarIT3_EEPKT1_PKT2_PKS4_S5_S8_SB_SD_S8_PS4_21rocsparse_index_base_SF_SF_bbb.has_recursion, 0
	.set _ZN9rocsparseL37csrgeam_fill_numeric_multipass_kernelILj256ELj64Eii21rocsparse_complex_numIfEEEvllNS_24const_host_device_scalarIT3_EEPKT1_PKT2_PKS4_S5_S8_SB_SD_S8_PS4_21rocsparse_index_base_SF_SF_bbb.has_indirect_call, 0
	.section	.AMDGPU.csdata,"",@progbits
; Kernel info:
; codeLenInByte = 1508
; TotalNumSgprs: 44
; NumVgprs: 29
; ScratchSize: 0
; MemoryBound: 0
; FloatMode: 240
; IeeeMode: 1
; LDSByteSize: 2304 bytes/workgroup (compile time only)
; SGPRBlocks: 5
; VGPRBlocks: 7
; NumSGPRsForWavesPerEU: 44
; NumVGPRsForWavesPerEU: 29
; Occupancy: 8
; WaveLimiterHint : 1
; COMPUTE_PGM_RSRC2:SCRATCH_EN: 0
; COMPUTE_PGM_RSRC2:USER_SGPR: 6
; COMPUTE_PGM_RSRC2:TRAP_HANDLER: 0
; COMPUTE_PGM_RSRC2:TGID_X_EN: 1
; COMPUTE_PGM_RSRC2:TGID_Y_EN: 0
; COMPUTE_PGM_RSRC2:TGID_Z_EN: 0
; COMPUTE_PGM_RSRC2:TIDIG_COMP_CNT: 0
	.section	.text._ZN9rocsparseL37csrgeam_fill_numeric_multipass_kernelILj256ELj32Eli21rocsparse_complex_numIfEEEvllNS_24const_host_device_scalarIT3_EEPKT1_PKT2_PKS4_S5_S8_SB_SD_S8_PS4_21rocsparse_index_base_SF_SF_bbb,"axG",@progbits,_ZN9rocsparseL37csrgeam_fill_numeric_multipass_kernelILj256ELj32Eli21rocsparse_complex_numIfEEEvllNS_24const_host_device_scalarIT3_EEPKT1_PKT2_PKS4_S5_S8_SB_SD_S8_PS4_21rocsparse_index_base_SF_SF_bbb,comdat
	.globl	_ZN9rocsparseL37csrgeam_fill_numeric_multipass_kernelILj256ELj32Eli21rocsparse_complex_numIfEEEvllNS_24const_host_device_scalarIT3_EEPKT1_PKT2_PKS4_S5_S8_SB_SD_S8_PS4_21rocsparse_index_base_SF_SF_bbb ; -- Begin function _ZN9rocsparseL37csrgeam_fill_numeric_multipass_kernelILj256ELj32Eli21rocsparse_complex_numIfEEEvllNS_24const_host_device_scalarIT3_EEPKT1_PKT2_PKS4_S5_S8_SB_SD_S8_PS4_21rocsparse_index_base_SF_SF_bbb
	.p2align	8
	.type	_ZN9rocsparseL37csrgeam_fill_numeric_multipass_kernelILj256ELj32Eli21rocsparse_complex_numIfEEEvllNS_24const_host_device_scalarIT3_EEPKT1_PKT2_PKS4_S5_S8_SB_SD_S8_PS4_21rocsparse_index_base_SF_SF_bbb,@function
_ZN9rocsparseL37csrgeam_fill_numeric_multipass_kernelILj256ELj32Eli21rocsparse_complex_numIfEEEvllNS_24const_host_device_scalarIT3_EEPKT1_PKT2_PKS4_S5_S8_SB_SD_S8_PS4_21rocsparse_index_base_SF_SF_bbb: ; @_ZN9rocsparseL37csrgeam_fill_numeric_multipass_kernelILj256ELj32Eli21rocsparse_complex_numIfEEEvllNS_24const_host_device_scalarIT3_EEPKT1_PKT2_PKS4_S5_S8_SB_SD_S8_PS4_21rocsparse_index_base_SF_SF_bbb
; %bb.0:
	s_load_dword s2, s[4:5], 0x6c
	s_load_dwordx8 s[8:15], s[4:5], 0x50
	s_load_dwordx4 s[36:39], s[4:5], 0x40
	s_load_dwordx8 s[16:23], s[4:5], 0x0
	s_load_dwordx8 s[24:31], s[4:5], 0x20
	s_waitcnt lgkmcnt(0)
	s_bitcmp1_b32 s2, 16
	s_cselect_b64 s[0:1], -1, 0
	s_xor_b64 s[0:1], s[0:1], -1
	v_cndmask_b32_e64 v1, 0, 1, s[0:1]
	s_mov_b32 s33, 0
	s_bitcmp0_b32 s15, 0
	v_cmp_ne_u32_e64 s[0:1], 1, v1
	s_mov_b32 s15, 0
	s_cbranch_scc1 .LBB14_6
; %bb.1:
	s_and_b64 vcc, exec, s[0:1]
	s_mov_b32 s15, s20
	s_cbranch_vccnz .LBB14_3
; %bb.2:
	s_load_dword s15, s[20:21], 0x0
.LBB14_3:
	s_and_b64 vcc, exec, s[0:1]
	s_cbranch_vccnz .LBB14_5
; %bb.4:
	s_load_dword s21, s[20:21], 0x4
.LBB14_5:
	s_waitcnt lgkmcnt(0)
	s_mov_b32 s33, s21
.LBB14_6:
	s_bfe_u32 s2, s2, 0x10008
	s_mov_b32 s20, 0
	s_cmp_eq_u32 s2, 0
	s_mov_b32 s21, 0
	s_cbranch_scc1 .LBB14_12
; %bb.7:
	s_and_b64 vcc, exec, s[0:1]
	s_mov_b32 s20, s28
	s_cbranch_vccnz .LBB14_9
; %bb.8:
	s_load_dword s20, s[28:29], 0x0
.LBB14_9:
	s_and_b64 vcc, exec, s[0:1]
	s_cbranch_vccnz .LBB14_11
; %bb.10:
	s_load_dword s29, s[28:29], 0x4
.LBB14_11:
	s_waitcnt lgkmcnt(0)
	s_mov_b32 s21, s29
.LBB14_12:
	s_lshl_b32 s0, s6, 3
	v_lshrrev_b32_e32 v1, 5, v0
	s_and_b32 s0, s0, 0x7fffff8
	v_or_b32_e32 v1, s0, v1
	v_mov_b32_e32 v2, 0
	v_cmp_gt_i64_e32 vcc, s[16:17], v[1:2]
	s_and_saveexec_b64 s[0:1], vcc
	s_cbranch_execz .LBB14_43
; %bb.13:
	v_lshlrev_b32_e32 v9, 3, v1
	global_load_dwordx4 v[1:4], v9, s[22:23]
	global_load_dwordx4 v[5:8], v9, s[30:31]
	global_load_dwordx2 v[11:12], v9, s[8:9]
	s_waitcnt vmcnt(2)
	v_cmp_ge_i64_e32 vcc, v[1:2], v[3:4]
	v_subrev_co_u32_e64 v9, s[0:1], s12, v1
	v_subbrev_co_u32_e64 v10, s[0:1], 0, v2, s[0:1]
	s_and_saveexec_b64 s[0:1], vcc
	s_xor_b64 s[0:1], exec, s[0:1]
	s_or_saveexec_b64 s[0:1], s[0:1]
	v_mov_b32_e32 v15, s18
	s_xor_b64 exec, exec, s[0:1]
	s_cbranch_execz .LBB14_15
; %bb.14:
	v_lshlrev_b64 v[1:2], 2, v[9:10]
	v_mov_b32_e32 v13, s25
	v_add_co_u32_e32 v1, vcc, s24, v1
	v_addc_co_u32_e32 v2, vcc, v13, v2, vcc
	global_load_dword v1, v[1:2], off
	s_waitcnt vmcnt(0)
	v_subrev_u32_e32 v15, s12, v1
.LBB14_15:
	s_or_b64 exec, exec, s[0:1]
	s_waitcnt vmcnt(1)
	v_subrev_co_u32_e32 v13, vcc, s13, v5
	v_subbrev_co_u32_e32 v14, vcc, 0, v6, vcc
	v_cmp_ge_i64_e32 vcc, v[5:6], v[7:8]
	s_mov_b32 s2, s13
	v_mov_b32_e32 v18, s18
	s_and_saveexec_b64 s[0:1], vcc
	s_xor_b64 s[0:1], exec, s[0:1]
; %bb.16:
	v_mov_b32_e32 v18, s18
; %bb.17:
	s_or_saveexec_b64 s[0:1], s[0:1]
	v_mov_b32_e32 v16, v18
	s_xor_b64 exec, exec, s[0:1]
	s_cbranch_execz .LBB14_19
; %bb.18:
	v_lshlrev_b64 v[1:2], 2, v[13:14]
	v_mov_b32_e32 v5, s37
	v_add_co_u32_e32 v1, vcc, s36, v1
	v_addc_co_u32_e32 v2, vcc, v5, v2, vcc
	global_load_dword v1, v[1:2], off
	s_waitcnt vmcnt(0)
	v_subrev_u32_e32 v16, s13, v1
.LBB14_19:
	s_or_b64 exec, exec, s[0:1]
	v_subrev_co_u32_e32 v1, vcc, s12, v3
	v_subbrev_co_u32_e32 v2, vcc, 0, v4, vcc
	v_subrev_co_u32_e32 v3, vcc, s2, v7
	v_subbrev_co_u32_e32 v4, vcc, 0, v8, vcc
	s_waitcnt vmcnt(0)
	v_subrev_co_u32_e32 v5, vcc, s14, v11
	v_subbrev_co_u32_e32 v6, vcc, 0, v12, vcc
	v_and_b32_e32 v19, 31, v0
	v_add_co_u32_e32 v7, vcc, v9, v19
	v_mbcnt_lo_u32_b32 v11, -1, 0
	v_addc_co_u32_e32 v8, vcc, 0, v10, vcc
	v_mbcnt_hi_u32_b32 v11, -1, v11
	v_add_co_u32_e32 v9, vcc, v13, v19
	v_and_b32_e32 v12, 64, v11
	v_addc_co_u32_e32 v10, vcc, 0, v14, vcc
	v_add_u32_e32 v12, 64, v12
	v_xor_b32_e32 v13, 16, v11
	v_xor_b32_e32 v14, 8, v11
	v_cmp_lt_i32_e32 vcc, v13, v12
	v_xor_b32_e32 v17, 4, v11
	v_cndmask_b32_e32 v23, v11, v13, vcc
	v_cmp_lt_i32_e32 vcc, v14, v12
	v_xor_b32_e32 v20, 2, v11
	v_cndmask_b32_e32 v14, v11, v14, vcc
	;; [unrolled: 3-line block ×3, first 2 shown]
	v_cmp_lt_i32_e32 vcc, v20, v12
	s_add_u32 s14, s26, 4
	v_and_b32_e32 v22, 0xe0, v0
	v_cndmask_b32_e32 v25, v11, v20, vcc
	v_cmp_lt_i32_e32 vcc, v21, v12
	s_addc_u32 s16, s27, 0
	v_cndmask_b32_e32 v11, v11, v21, vcc
	v_lshlrev_b32_e32 v20, 3, v22
	v_xor_b32_e32 v12, 31, v19
	s_add_u32 s17, s38, 4
	v_or_b32_e32 v0, 0x800, v22
	v_min_i32_e32 v13, v16, v15
	v_lshrrev_b32_e64 v21, v12, -1
	v_lshlrev_b32_e32 v22, 2, v23
	v_lshlrev_b32_e32 v23, 2, v14
	v_lshlrev_b32_e32 v24, 2, v17
	v_lshlrev_b32_e32 v25, 2, v25
	v_lshlrev_b32_e32 v26, 2, v11
	s_addc_u32 s22, s39, 0
	s_mov_b64 s[2:3], 0
	v_lshl_or_b32 v27, v19, 3, v20
	v_mov_b32_e32 v28, 1
	v_mov_b32_e32 v11, 0
	s_branch .LBB14_21
.LBB14_20:                              ;   in Loop: Header=BB14_21 Depth=1
	s_or_b64 exec, exec, s[4:5]
	ds_bpermute_b32 v13, v22, v12
	s_bcnt1_i32_b64 s4, vcc
	v_add_co_u32_e32 v5, vcc, s4, v5
	v_addc_co_u32_e32 v6, vcc, 0, v6, vcc
	s_waitcnt lgkmcnt(0)
	v_min_i32_e32 v12, v13, v12
	ds_bpermute_b32 v13, v23, v12
	s_waitcnt lgkmcnt(0)
	v_min_i32_e32 v12, v13, v12
	ds_bpermute_b32 v13, v24, v12
	;; [unrolled: 3-line block ×4, first 2 shown]
	s_waitcnt lgkmcnt(0)
	v_min_i32_e32 v13, v13, v12
	v_ashrrev_i32_e32 v14, 31, v13
	v_cmp_le_i64_e64 s[0:1], s[18:19], v[13:14]
	s_or_b64 s[2:3], s[0:1], s[2:3]
	s_andn2_b64 exec, exec, s[2:3]
	s_cbranch_execz .LBB14_43
.LBB14_21:                              ; =>This Loop Header: Depth=1
                                        ;     Child Loop BB14_24 Depth 2
                                        ;     Child Loop BB14_34 Depth 2
	v_mov_b32_e32 v12, v11
	v_cmp_lt_i64_e32 vcc, v[7:8], v[1:2]
	v_add_u32_e32 v29, v0, v19
	ds_write_b64 v27, v[11:12]
	v_mov_b32_e32 v12, v18
	ds_write_b8 v29, v11
	s_waitcnt lgkmcnt(0)
	s_and_saveexec_b64 s[4:5], vcc
	s_cbranch_execz .LBB14_31
; %bb.22:                               ;   in Loop: Header=BB14_21 Depth=1
	v_lshlrev_b64 v[14:15], 2, v[7:8]
	v_mov_b32_e32 v12, s25
	v_add_co_u32_e32 v14, vcc, s24, v14
	v_lshlrev_b64 v[16:17], 3, v[7:8]
	v_addc_co_u32_e32 v15, vcc, v12, v15, vcc
	v_mov_b32_e32 v12, s16
	v_add_co_u32_e32 v16, vcc, s14, v16
	v_addc_co_u32_e32 v17, vcc, v12, v17, vcc
	s_mov_b64 s[6:7], 0
	v_mov_b32_e32 v12, v18
	s_branch .LBB14_24
.LBB14_23:                              ;   in Loop: Header=BB14_24 Depth=2
	s_or_b64 exec, exec, s[8:9]
	s_and_b64 s[0:1], exec, s[0:1]
	s_or_b64 s[6:7], s[0:1], s[6:7]
	s_andn2_b64 exec, exec, s[6:7]
	s_cbranch_execz .LBB14_30
.LBB14_24:                              ;   Parent Loop BB14_21 Depth=1
                                        ; =>  This Inner Loop Header: Depth=2
	global_load_dword v30, v[14:15], off
	s_waitcnt vmcnt(0)
	v_subrev_u32_e32 v31, s12, v30
	v_sub_u32_e32 v30, v31, v13
	v_cmp_gt_u32_e32 vcc, 32, v30
	v_cmp_lt_u32_e64 s[0:1], 31, v30
	s_and_saveexec_b64 s[8:9], s[0:1]
	s_xor_b64 s[0:1], exec, s[8:9]
	s_cbranch_execnz .LBB14_27
; %bb.25:                               ;   in Loop: Header=BB14_24 Depth=2
	s_andn2_saveexec_b64 s[0:1], s[0:1]
	s_cbranch_execnz .LBB14_28
.LBB14_26:                              ;   in Loop: Header=BB14_24 Depth=2
	s_or_b64 exec, exec, s[0:1]
	s_mov_b64 s[0:1], -1
	s_and_saveexec_b64 s[8:9], vcc
	s_cbranch_execz .LBB14_23
	s_branch .LBB14_29
.LBB14_27:                              ;   in Loop: Header=BB14_24 Depth=2
	v_min_i32_e32 v12, v31, v12
                                        ; implicit-def: $vgpr30
	s_andn2_saveexec_b64 s[0:1], s[0:1]
	s_cbranch_execz .LBB14_26
.LBB14_28:                              ;   in Loop: Header=BB14_24 Depth=2
	global_load_dwordx2 v[31:32], v[16:17], off offset:-4
	v_add_u32_e32 v33, v0, v30
	ds_write_b8 v33, v28
	v_lshl_add_u32 v30, v30, 3, v20
	s_waitcnt vmcnt(0)
	v_mul_f32_e64 v33, v32, -s33
	v_mul_f32_e32 v34, s15, v32
	v_fmac_f32_e32 v33, s15, v31
	v_fmac_f32_e32 v34, s33, v31
	ds_write_b64 v30, v[33:34]
	s_or_b64 exec, exec, s[0:1]
	s_mov_b64 s[0:1], -1
	s_and_saveexec_b64 s[8:9], vcc
	s_cbranch_execz .LBB14_23
.LBB14_29:                              ;   in Loop: Header=BB14_24 Depth=2
	v_add_co_u32_e32 v7, vcc, 32, v7
	v_addc_co_u32_e32 v8, vcc, 0, v8, vcc
	v_add_co_u32_e32 v14, vcc, 0x80, v14
	v_addc_co_u32_e32 v15, vcc, 0, v15, vcc
	v_cmp_ge_i64_e64 s[0:1], v[7:8], v[1:2]
	v_add_co_u32_e32 v16, vcc, 0x100, v16
	v_addc_co_u32_e32 v17, vcc, 0, v17, vcc
	s_orn2_b64 s[0:1], s[0:1], exec
	s_branch .LBB14_23
.LBB14_30:                              ;   in Loop: Header=BB14_21 Depth=1
	s_or_b64 exec, exec, s[6:7]
.LBB14_31:                              ;   in Loop: Header=BB14_21 Depth=1
	s_or_b64 exec, exec, s[4:5]
	v_cmp_lt_i64_e32 vcc, v[9:10], v[3:4]
	s_waitcnt lgkmcnt(0)
	s_and_saveexec_b64 s[4:5], vcc
	s_cbranch_execz .LBB14_41
; %bb.32:                               ;   in Loop: Header=BB14_21 Depth=1
	v_lshlrev_b64 v[14:15], 2, v[9:10]
	v_mov_b32_e32 v16, s37
	v_add_co_u32_e32 v14, vcc, s36, v14
	v_addc_co_u32_e32 v15, vcc, v16, v15, vcc
	v_lshlrev_b64 v[16:17], 3, v[9:10]
	v_mov_b32_e32 v30, s22
	v_add_co_u32_e32 v16, vcc, s17, v16
	v_addc_co_u32_e32 v17, vcc, v30, v17, vcc
	s_mov_b64 s[6:7], 0
	s_branch .LBB14_34
.LBB14_33:                              ;   in Loop: Header=BB14_34 Depth=2
	s_or_b64 exec, exec, s[8:9]
	s_and_b64 s[0:1], exec, s[0:1]
	s_or_b64 s[6:7], s[0:1], s[6:7]
	s_andn2_b64 exec, exec, s[6:7]
	s_cbranch_execz .LBB14_40
.LBB14_34:                              ;   Parent Loop BB14_21 Depth=1
                                        ; =>  This Inner Loop Header: Depth=2
	global_load_dword v30, v[14:15], off
	s_waitcnt vmcnt(0)
	v_subrev_u32_e32 v31, s13, v30
	v_sub_u32_e32 v30, v31, v13
	v_cmp_gt_u32_e32 vcc, 32, v30
	v_cmp_lt_u32_e64 s[0:1], 31, v30
	s_and_saveexec_b64 s[8:9], s[0:1]
	s_xor_b64 s[0:1], exec, s[8:9]
	s_cbranch_execnz .LBB14_37
; %bb.35:                               ;   in Loop: Header=BB14_34 Depth=2
	s_andn2_saveexec_b64 s[0:1], s[0:1]
	s_cbranch_execnz .LBB14_38
.LBB14_36:                              ;   in Loop: Header=BB14_34 Depth=2
	s_or_b64 exec, exec, s[0:1]
	s_mov_b64 s[0:1], -1
	s_and_saveexec_b64 s[8:9], vcc
	s_cbranch_execz .LBB14_33
	s_branch .LBB14_39
.LBB14_37:                              ;   in Loop: Header=BB14_34 Depth=2
	v_min_i32_e32 v12, v31, v12
                                        ; implicit-def: $vgpr30
	s_andn2_saveexec_b64 s[0:1], s[0:1]
	s_cbranch_execz .LBB14_36
.LBB14_38:                              ;   in Loop: Header=BB14_34 Depth=2
	global_load_dwordx2 v[31:32], v[16:17], off offset:-4
	v_lshl_add_u32 v35, v30, 3, v20
	ds_read_b64 v[33:34], v35
	v_add_u32_e32 v30, v0, v30
	ds_write_b8 v30, v28
	s_waitcnt vmcnt(0) lgkmcnt(1)
	v_fma_f32 v30, s20, v31, v33
	v_fmac_f32_e32 v34, s21, v31
	v_fma_f32 v33, -s21, v32, v30
	v_fmac_f32_e32 v34, s20, v32
	ds_write_b64 v35, v[33:34]
	s_or_b64 exec, exec, s[0:1]
	s_mov_b64 s[0:1], -1
	s_and_saveexec_b64 s[8:9], vcc
	s_cbranch_execz .LBB14_33
.LBB14_39:                              ;   in Loop: Header=BB14_34 Depth=2
	v_add_co_u32_e32 v9, vcc, 32, v9
	v_addc_co_u32_e32 v10, vcc, 0, v10, vcc
	v_add_co_u32_e32 v14, vcc, 0x80, v14
	v_addc_co_u32_e32 v15, vcc, 0, v15, vcc
	v_cmp_ge_i64_e64 s[0:1], v[9:10], v[3:4]
	v_add_co_u32_e32 v16, vcc, 0x100, v16
	v_addc_co_u32_e32 v17, vcc, 0, v17, vcc
	s_orn2_b64 s[0:1], s[0:1], exec
	s_branch .LBB14_33
.LBB14_40:                              ;   in Loop: Header=BB14_21 Depth=1
	s_or_b64 exec, exec, s[6:7]
.LBB14_41:                              ;   in Loop: Header=BB14_21 Depth=1
	s_or_b64 exec, exec, s[4:5]
	s_waitcnt lgkmcnt(0)
	ds_read_u8 v13, v29
	s_waitcnt lgkmcnt(0)
	v_and_b32_e32 v14, 1, v13
	v_cmp_eq_u32_e64 s[0:1], 1, v14
	v_cmp_ne_u16_e32 vcc, 0, v13
	s_and_saveexec_b64 s[4:5], s[0:1]
	s_cbranch_execz .LBB14_20
; %bb.42:                               ;   in Loop: Header=BB14_21 Depth=1
	v_lshlrev_b64 v[13:14], 3, v[5:6]
	v_mov_b32_e32 v15, s11
	v_add_co_u32_e64 v16, s[0:1], s10, v13
	v_and_b32_e32 v13, vcc_lo, v21
	v_bcnt_u32_b32 v13, v13, 0
	v_addc_co_u32_e64 v17, s[0:1], v15, v14, s[0:1]
	v_lshlrev_b32_e32 v15, 3, v13
	ds_read_b64 v[13:14], v27
	v_add_co_u32_e64 v15, s[0:1], v16, v15
	v_addc_co_u32_e64 v16, s[0:1], 0, v17, s[0:1]
	s_waitcnt lgkmcnt(0)
	global_store_dwordx2 v[15:16], v[13:14], off offset:-8
	s_branch .LBB14_20
.LBB14_43:
	s_endpgm
	.section	.rodata,"a",@progbits
	.p2align	6, 0x0
	.amdhsa_kernel _ZN9rocsparseL37csrgeam_fill_numeric_multipass_kernelILj256ELj32Eli21rocsparse_complex_numIfEEEvllNS_24const_host_device_scalarIT3_EEPKT1_PKT2_PKS4_S5_S8_SB_SD_S8_PS4_21rocsparse_index_base_SF_SF_bbb
		.amdhsa_group_segment_fixed_size 2304
		.amdhsa_private_segment_fixed_size 0
		.amdhsa_kernarg_size 112
		.amdhsa_user_sgpr_count 6
		.amdhsa_user_sgpr_private_segment_buffer 1
		.amdhsa_user_sgpr_dispatch_ptr 0
		.amdhsa_user_sgpr_queue_ptr 0
		.amdhsa_user_sgpr_kernarg_segment_ptr 1
		.amdhsa_user_sgpr_dispatch_id 0
		.amdhsa_user_sgpr_flat_scratch_init 0
		.amdhsa_user_sgpr_private_segment_size 0
		.amdhsa_uses_dynamic_stack 0
		.amdhsa_system_sgpr_private_segment_wavefront_offset 0
		.amdhsa_system_sgpr_workgroup_id_x 1
		.amdhsa_system_sgpr_workgroup_id_y 0
		.amdhsa_system_sgpr_workgroup_id_z 0
		.amdhsa_system_sgpr_workgroup_info 0
		.amdhsa_system_vgpr_workitem_id 0
		.amdhsa_next_free_vgpr 36
		.amdhsa_next_free_sgpr 40
		.amdhsa_reserve_vcc 1
		.amdhsa_reserve_flat_scratch 0
		.amdhsa_float_round_mode_32 0
		.amdhsa_float_round_mode_16_64 0
		.amdhsa_float_denorm_mode_32 3
		.amdhsa_float_denorm_mode_16_64 3
		.amdhsa_dx10_clamp 1
		.amdhsa_ieee_mode 1
		.amdhsa_fp16_overflow 0
		.amdhsa_exception_fp_ieee_invalid_op 0
		.amdhsa_exception_fp_denorm_src 0
		.amdhsa_exception_fp_ieee_div_zero 0
		.amdhsa_exception_fp_ieee_overflow 0
		.amdhsa_exception_fp_ieee_underflow 0
		.amdhsa_exception_fp_ieee_inexact 0
		.amdhsa_exception_int_div_zero 0
	.end_amdhsa_kernel
	.section	.text._ZN9rocsparseL37csrgeam_fill_numeric_multipass_kernelILj256ELj32Eli21rocsparse_complex_numIfEEEvllNS_24const_host_device_scalarIT3_EEPKT1_PKT2_PKS4_S5_S8_SB_SD_S8_PS4_21rocsparse_index_base_SF_SF_bbb,"axG",@progbits,_ZN9rocsparseL37csrgeam_fill_numeric_multipass_kernelILj256ELj32Eli21rocsparse_complex_numIfEEEvllNS_24const_host_device_scalarIT3_EEPKT1_PKT2_PKS4_S5_S8_SB_SD_S8_PS4_21rocsparse_index_base_SF_SF_bbb,comdat
.Lfunc_end14:
	.size	_ZN9rocsparseL37csrgeam_fill_numeric_multipass_kernelILj256ELj32Eli21rocsparse_complex_numIfEEEvllNS_24const_host_device_scalarIT3_EEPKT1_PKT2_PKS4_S5_S8_SB_SD_S8_PS4_21rocsparse_index_base_SF_SF_bbb, .Lfunc_end14-_ZN9rocsparseL37csrgeam_fill_numeric_multipass_kernelILj256ELj32Eli21rocsparse_complex_numIfEEEvllNS_24const_host_device_scalarIT3_EEPKT1_PKT2_PKS4_S5_S8_SB_SD_S8_PS4_21rocsparse_index_base_SF_SF_bbb
                                        ; -- End function
	.set _ZN9rocsparseL37csrgeam_fill_numeric_multipass_kernelILj256ELj32Eli21rocsparse_complex_numIfEEEvllNS_24const_host_device_scalarIT3_EEPKT1_PKT2_PKS4_S5_S8_SB_SD_S8_PS4_21rocsparse_index_base_SF_SF_bbb.num_vgpr, 36
	.set _ZN9rocsparseL37csrgeam_fill_numeric_multipass_kernelILj256ELj32Eli21rocsparse_complex_numIfEEEvllNS_24const_host_device_scalarIT3_EEPKT1_PKT2_PKS4_S5_S8_SB_SD_S8_PS4_21rocsparse_index_base_SF_SF_bbb.num_agpr, 0
	.set _ZN9rocsparseL37csrgeam_fill_numeric_multipass_kernelILj256ELj32Eli21rocsparse_complex_numIfEEEvllNS_24const_host_device_scalarIT3_EEPKT1_PKT2_PKS4_S5_S8_SB_SD_S8_PS4_21rocsparse_index_base_SF_SF_bbb.numbered_sgpr, 40
	.set _ZN9rocsparseL37csrgeam_fill_numeric_multipass_kernelILj256ELj32Eli21rocsparse_complex_numIfEEEvllNS_24const_host_device_scalarIT3_EEPKT1_PKT2_PKS4_S5_S8_SB_SD_S8_PS4_21rocsparse_index_base_SF_SF_bbb.num_named_barrier, 0
	.set _ZN9rocsparseL37csrgeam_fill_numeric_multipass_kernelILj256ELj32Eli21rocsparse_complex_numIfEEEvllNS_24const_host_device_scalarIT3_EEPKT1_PKT2_PKS4_S5_S8_SB_SD_S8_PS4_21rocsparse_index_base_SF_SF_bbb.private_seg_size, 0
	.set _ZN9rocsparseL37csrgeam_fill_numeric_multipass_kernelILj256ELj32Eli21rocsparse_complex_numIfEEEvllNS_24const_host_device_scalarIT3_EEPKT1_PKT2_PKS4_S5_S8_SB_SD_S8_PS4_21rocsparse_index_base_SF_SF_bbb.uses_vcc, 1
	.set _ZN9rocsparseL37csrgeam_fill_numeric_multipass_kernelILj256ELj32Eli21rocsparse_complex_numIfEEEvllNS_24const_host_device_scalarIT3_EEPKT1_PKT2_PKS4_S5_S8_SB_SD_S8_PS4_21rocsparse_index_base_SF_SF_bbb.uses_flat_scratch, 0
	.set _ZN9rocsparseL37csrgeam_fill_numeric_multipass_kernelILj256ELj32Eli21rocsparse_complex_numIfEEEvllNS_24const_host_device_scalarIT3_EEPKT1_PKT2_PKS4_S5_S8_SB_SD_S8_PS4_21rocsparse_index_base_SF_SF_bbb.has_dyn_sized_stack, 0
	.set _ZN9rocsparseL37csrgeam_fill_numeric_multipass_kernelILj256ELj32Eli21rocsparse_complex_numIfEEEvllNS_24const_host_device_scalarIT3_EEPKT1_PKT2_PKS4_S5_S8_SB_SD_S8_PS4_21rocsparse_index_base_SF_SF_bbb.has_recursion, 0
	.set _ZN9rocsparseL37csrgeam_fill_numeric_multipass_kernelILj256ELj32Eli21rocsparse_complex_numIfEEEvllNS_24const_host_device_scalarIT3_EEPKT1_PKT2_PKS4_S5_S8_SB_SD_S8_PS4_21rocsparse_index_base_SF_SF_bbb.has_indirect_call, 0
	.section	.AMDGPU.csdata,"",@progbits
; Kernel info:
; codeLenInByte = 1564
; TotalNumSgprs: 44
; NumVgprs: 36
; ScratchSize: 0
; MemoryBound: 0
; FloatMode: 240
; IeeeMode: 1
; LDSByteSize: 2304 bytes/workgroup (compile time only)
; SGPRBlocks: 5
; VGPRBlocks: 8
; NumSGPRsForWavesPerEU: 44
; NumVGPRsForWavesPerEU: 36
; Occupancy: 7
; WaveLimiterHint : 1
; COMPUTE_PGM_RSRC2:SCRATCH_EN: 0
; COMPUTE_PGM_RSRC2:USER_SGPR: 6
; COMPUTE_PGM_RSRC2:TRAP_HANDLER: 0
; COMPUTE_PGM_RSRC2:TGID_X_EN: 1
; COMPUTE_PGM_RSRC2:TGID_Y_EN: 0
; COMPUTE_PGM_RSRC2:TGID_Z_EN: 0
; COMPUTE_PGM_RSRC2:TIDIG_COMP_CNT: 0
	.section	.text._ZN9rocsparseL37csrgeam_fill_numeric_multipass_kernelILj256ELj64Eli21rocsparse_complex_numIfEEEvllNS_24const_host_device_scalarIT3_EEPKT1_PKT2_PKS4_S5_S8_SB_SD_S8_PS4_21rocsparse_index_base_SF_SF_bbb,"axG",@progbits,_ZN9rocsparseL37csrgeam_fill_numeric_multipass_kernelILj256ELj64Eli21rocsparse_complex_numIfEEEvllNS_24const_host_device_scalarIT3_EEPKT1_PKT2_PKS4_S5_S8_SB_SD_S8_PS4_21rocsparse_index_base_SF_SF_bbb,comdat
	.globl	_ZN9rocsparseL37csrgeam_fill_numeric_multipass_kernelILj256ELj64Eli21rocsparse_complex_numIfEEEvllNS_24const_host_device_scalarIT3_EEPKT1_PKT2_PKS4_S5_S8_SB_SD_S8_PS4_21rocsparse_index_base_SF_SF_bbb ; -- Begin function _ZN9rocsparseL37csrgeam_fill_numeric_multipass_kernelILj256ELj64Eli21rocsparse_complex_numIfEEEvllNS_24const_host_device_scalarIT3_EEPKT1_PKT2_PKS4_S5_S8_SB_SD_S8_PS4_21rocsparse_index_base_SF_SF_bbb
	.p2align	8
	.type	_ZN9rocsparseL37csrgeam_fill_numeric_multipass_kernelILj256ELj64Eli21rocsparse_complex_numIfEEEvllNS_24const_host_device_scalarIT3_EEPKT1_PKT2_PKS4_S5_S8_SB_SD_S8_PS4_21rocsparse_index_base_SF_SF_bbb,@function
_ZN9rocsparseL37csrgeam_fill_numeric_multipass_kernelILj256ELj64Eli21rocsparse_complex_numIfEEEvllNS_24const_host_device_scalarIT3_EEPKT1_PKT2_PKS4_S5_S8_SB_SD_S8_PS4_21rocsparse_index_base_SF_SF_bbb: ; @_ZN9rocsparseL37csrgeam_fill_numeric_multipass_kernelILj256ELj64Eli21rocsparse_complex_numIfEEEvllNS_24const_host_device_scalarIT3_EEPKT1_PKT2_PKS4_S5_S8_SB_SD_S8_PS4_21rocsparse_index_base_SF_SF_bbb
; %bb.0:
	s_load_dword s2, s[4:5], 0x6c
	s_load_dwordx8 s[8:15], s[4:5], 0x50
	s_load_dwordx4 s[36:39], s[4:5], 0x40
	s_load_dwordx8 s[16:23], s[4:5], 0x0
	s_load_dwordx8 s[24:31], s[4:5], 0x20
	s_waitcnt lgkmcnt(0)
	s_bitcmp1_b32 s2, 16
	s_cselect_b64 s[0:1], -1, 0
	s_xor_b64 s[0:1], s[0:1], -1
	v_cndmask_b32_e64 v1, 0, 1, s[0:1]
	s_mov_b32 s33, 0
	s_bitcmp0_b32 s15, 0
	v_cmp_ne_u32_e64 s[0:1], 1, v1
	s_mov_b32 s15, 0
	s_cbranch_scc1 .LBB15_6
; %bb.1:
	s_and_b64 vcc, exec, s[0:1]
	s_mov_b32 s15, s20
	s_cbranch_vccnz .LBB15_3
; %bb.2:
	s_load_dword s15, s[20:21], 0x0
.LBB15_3:
	s_and_b64 vcc, exec, s[0:1]
	s_cbranch_vccnz .LBB15_5
; %bb.4:
	s_load_dword s21, s[20:21], 0x4
.LBB15_5:
	s_waitcnt lgkmcnt(0)
	s_mov_b32 s33, s21
.LBB15_6:
	s_bfe_u32 s2, s2, 0x10008
	s_mov_b32 s20, 0
	s_cmp_eq_u32 s2, 0
	s_mov_b32 s21, 0
	s_cbranch_scc1 .LBB15_12
; %bb.7:
	s_and_b64 vcc, exec, s[0:1]
	s_mov_b32 s20, s28
	s_cbranch_vccnz .LBB15_9
; %bb.8:
	s_load_dword s20, s[28:29], 0x0
.LBB15_9:
	s_and_b64 vcc, exec, s[0:1]
	s_cbranch_vccnz .LBB15_11
; %bb.10:
	s_load_dword s29, s[28:29], 0x4
.LBB15_11:
	s_waitcnt lgkmcnt(0)
	s_mov_b32 s21, s29
.LBB15_12:
	s_lshl_b32 s0, s6, 2
	v_lshrrev_b32_e32 v1, 6, v0
	s_and_b32 s0, s0, 0x3fffffc
	v_or_b32_e32 v1, s0, v1
	v_mov_b32_e32 v2, 0
	v_cmp_gt_i64_e32 vcc, s[16:17], v[1:2]
	s_and_saveexec_b64 s[0:1], vcc
	s_cbranch_execz .LBB15_43
; %bb.13:
	v_lshlrev_b32_e32 v9, 3, v1
	global_load_dwordx4 v[1:4], v9, s[22:23]
	global_load_dwordx4 v[5:8], v9, s[30:31]
	global_load_dwordx2 v[11:12], v9, s[8:9]
	s_waitcnt vmcnt(2)
	v_cmp_ge_i64_e32 vcc, v[1:2], v[3:4]
	v_subrev_co_u32_e64 v9, s[0:1], s12, v1
	v_subbrev_co_u32_e64 v10, s[0:1], 0, v2, s[0:1]
	s_and_saveexec_b64 s[0:1], vcc
	s_xor_b64 s[0:1], exec, s[0:1]
	s_or_saveexec_b64 s[0:1], s[0:1]
	v_mov_b32_e32 v15, s18
	s_xor_b64 exec, exec, s[0:1]
	s_cbranch_execz .LBB15_15
; %bb.14:
	v_lshlrev_b64 v[1:2], 2, v[9:10]
	v_mov_b32_e32 v13, s25
	v_add_co_u32_e32 v1, vcc, s24, v1
	v_addc_co_u32_e32 v2, vcc, v13, v2, vcc
	global_load_dword v1, v[1:2], off
	s_waitcnt vmcnt(0)
	v_subrev_u32_e32 v15, s12, v1
.LBB15_15:
	s_or_b64 exec, exec, s[0:1]
	s_waitcnt vmcnt(1)
	v_subrev_co_u32_e32 v13, vcc, s13, v5
	v_subbrev_co_u32_e32 v14, vcc, 0, v6, vcc
	v_cmp_ge_i64_e32 vcc, v[5:6], v[7:8]
	s_mov_b32 s2, s13
	v_mov_b32_e32 v20, s18
	s_and_saveexec_b64 s[0:1], vcc
	s_xor_b64 s[0:1], exec, s[0:1]
; %bb.16:
	v_mov_b32_e32 v20, s18
; %bb.17:
	s_or_saveexec_b64 s[0:1], s[0:1]
	v_mov_b32_e32 v16, v20
	s_xor_b64 exec, exec, s[0:1]
	s_cbranch_execz .LBB15_19
; %bb.18:
	v_lshlrev_b64 v[1:2], 2, v[13:14]
	v_mov_b32_e32 v5, s37
	v_add_co_u32_e32 v1, vcc, s36, v1
	v_addc_co_u32_e32 v2, vcc, v5, v2, vcc
	global_load_dword v1, v[1:2], off
	s_waitcnt vmcnt(0)
	v_subrev_u32_e32 v16, s13, v1
.LBB15_19:
	s_or_b64 exec, exec, s[0:1]
	v_subrev_co_u32_e32 v1, vcc, s12, v3
	v_subbrev_co_u32_e32 v2, vcc, 0, v4, vcc
	v_subrev_co_u32_e32 v3, vcc, s2, v7
	v_subbrev_co_u32_e32 v4, vcc, 0, v8, vcc
	s_waitcnt vmcnt(0)
	v_subrev_co_u32_e32 v5, vcc, s14, v11
	v_subbrev_co_u32_e32 v6, vcc, 0, v12, vcc
	v_and_b32_e32 v21, 63, v0
	v_add_co_u32_e32 v7, vcc, v9, v21
	v_mbcnt_lo_u32_b32 v11, -1, 0
	v_addc_co_u32_e32 v8, vcc, 0, v10, vcc
	v_mbcnt_hi_u32_b32 v11, -1, v11
	v_add_co_u32_e32 v9, vcc, v13, v21
	v_and_b32_e32 v12, 64, v11
	v_addc_co_u32_e32 v10, vcc, 0, v14, vcc
	v_add_u32_e32 v12, 64, v12
	v_xor_b32_e32 v22, 32, v11
	v_xor_b32_e32 v13, 16, v11
	v_cmp_lt_i32_e32 vcc, v22, v12
	v_xor_b32_e32 v14, 8, v11
	v_cndmask_b32_e32 v23, v11, v22, vcc
	v_cmp_lt_i32_e32 vcc, v13, v12
	v_xor_b32_e32 v17, 4, v11
	v_cndmask_b32_e32 v13, v11, v13, vcc
	;; [unrolled: 3-line block ×4, first 2 shown]
	v_cmp_lt_i32_e32 vcc, v18, v12
	v_cndmask_b32_e32 v18, v11, v18, vcc
	v_cmp_lt_i32_e32 vcc, v19, v12
	v_cndmask_b32_e32 v11, v11, v19, vcc
	s_add_u32 s14, s26, 4
	v_and_b32_e32 v12, 0xc0, v0
	v_lshlrev_b32_e32 v28, 2, v11
	s_addc_u32 s16, s27, 0
	v_xor_b32_e32 v11, 63, v21
	v_or_b32_e32 v0, 0x800, v12
	v_lshlrev_b32_e32 v22, 3, v12
	s_add_u32 s17, s38, 4
	v_lshrrev_b64 v[11:12], v11, -1
	v_min_i32_e32 v15, v16, v15
	v_lshlrev_b32_e32 v23, 2, v23
	v_lshlrev_b32_e32 v24, 2, v13
	;; [unrolled: 1-line block ×5, first 2 shown]
	s_addc_u32 s22, s39, 0
	s_mov_b64 s[2:3], 0
	v_lshl_or_b32 v29, v21, 3, v22
	v_mov_b32_e32 v30, 1
	v_mov_b32_e32 v13, 0
	s_branch .LBB15_21
.LBB15_20:                              ;   in Loop: Header=BB15_21 Depth=1
	s_or_b64 exec, exec, s[4:5]
	ds_bpermute_b32 v15, v23, v14
	s_bcnt1_i32_b64 s4, vcc
	v_add_co_u32_e32 v5, vcc, s4, v5
	v_addc_co_u32_e32 v6, vcc, 0, v6, vcc
	s_waitcnt lgkmcnt(0)
	v_min_i32_e32 v14, v15, v14
	ds_bpermute_b32 v15, v24, v14
	s_waitcnt lgkmcnt(0)
	v_min_i32_e32 v14, v15, v14
	ds_bpermute_b32 v15, v25, v14
	;; [unrolled: 3-line block ×5, first 2 shown]
	s_waitcnt lgkmcnt(0)
	v_min_i32_e32 v15, v15, v14
	v_ashrrev_i32_e32 v16, 31, v15
	v_cmp_le_i64_e64 s[0:1], s[18:19], v[15:16]
	s_or_b64 s[2:3], s[0:1], s[2:3]
	s_andn2_b64 exec, exec, s[2:3]
	s_cbranch_execz .LBB15_43
.LBB15_21:                              ; =>This Loop Header: Depth=1
                                        ;     Child Loop BB15_24 Depth 2
                                        ;     Child Loop BB15_34 Depth 2
	v_mov_b32_e32 v14, v13
	v_cmp_lt_i64_e32 vcc, v[7:8], v[1:2]
	v_add_u32_e32 v31, v0, v21
	ds_write_b64 v29, v[13:14]
	v_mov_b32_e32 v14, v20
	ds_write_b8 v31, v13
	s_waitcnt lgkmcnt(0)
	s_and_saveexec_b64 s[4:5], vcc
	s_cbranch_execz .LBB15_31
; %bb.22:                               ;   in Loop: Header=BB15_21 Depth=1
	v_lshlrev_b64 v[16:17], 2, v[7:8]
	v_mov_b32_e32 v14, s25
	v_add_co_u32_e32 v16, vcc, s24, v16
	v_lshlrev_b64 v[18:19], 3, v[7:8]
	v_addc_co_u32_e32 v17, vcc, v14, v17, vcc
	v_mov_b32_e32 v14, s16
	v_add_co_u32_e32 v18, vcc, s14, v18
	v_addc_co_u32_e32 v19, vcc, v14, v19, vcc
	s_mov_b64 s[6:7], 0
	v_mov_b32_e32 v14, v20
	s_branch .LBB15_24
.LBB15_23:                              ;   in Loop: Header=BB15_24 Depth=2
	s_or_b64 exec, exec, s[8:9]
	s_and_b64 s[0:1], exec, s[0:1]
	s_or_b64 s[6:7], s[0:1], s[6:7]
	s_andn2_b64 exec, exec, s[6:7]
	s_cbranch_execz .LBB15_30
.LBB15_24:                              ;   Parent Loop BB15_21 Depth=1
                                        ; =>  This Inner Loop Header: Depth=2
	global_load_dword v32, v[16:17], off
	s_waitcnt vmcnt(0)
	v_subrev_u32_e32 v33, s12, v32
	v_sub_u32_e32 v32, v33, v15
	v_cmp_gt_u32_e32 vcc, 64, v32
	v_cmp_lt_u32_e64 s[0:1], 63, v32
	s_and_saveexec_b64 s[8:9], s[0:1]
	s_xor_b64 s[0:1], exec, s[8:9]
	s_cbranch_execnz .LBB15_27
; %bb.25:                               ;   in Loop: Header=BB15_24 Depth=2
	s_andn2_saveexec_b64 s[0:1], s[0:1]
	s_cbranch_execnz .LBB15_28
.LBB15_26:                              ;   in Loop: Header=BB15_24 Depth=2
	s_or_b64 exec, exec, s[0:1]
	s_mov_b64 s[0:1], -1
	s_and_saveexec_b64 s[8:9], vcc
	s_cbranch_execz .LBB15_23
	s_branch .LBB15_29
.LBB15_27:                              ;   in Loop: Header=BB15_24 Depth=2
	v_min_i32_e32 v14, v33, v14
                                        ; implicit-def: $vgpr32
	s_andn2_saveexec_b64 s[0:1], s[0:1]
	s_cbranch_execz .LBB15_26
.LBB15_28:                              ;   in Loop: Header=BB15_24 Depth=2
	global_load_dwordx2 v[33:34], v[18:19], off offset:-4
	v_add_u32_e32 v35, v0, v32
	ds_write_b8 v35, v30
	v_lshl_add_u32 v32, v32, 3, v22
	s_waitcnt vmcnt(0)
	v_mul_f32_e64 v35, v34, -s33
	v_mul_f32_e32 v36, s15, v34
	v_fmac_f32_e32 v35, s15, v33
	v_fmac_f32_e32 v36, s33, v33
	ds_write_b64 v32, v[35:36]
	s_or_b64 exec, exec, s[0:1]
	s_mov_b64 s[0:1], -1
	s_and_saveexec_b64 s[8:9], vcc
	s_cbranch_execz .LBB15_23
.LBB15_29:                              ;   in Loop: Header=BB15_24 Depth=2
	v_add_co_u32_e32 v7, vcc, 64, v7
	v_addc_co_u32_e32 v8, vcc, 0, v8, vcc
	v_add_co_u32_e32 v16, vcc, 0x100, v16
	v_addc_co_u32_e32 v17, vcc, 0, v17, vcc
	v_cmp_ge_i64_e64 s[0:1], v[7:8], v[1:2]
	v_add_co_u32_e32 v18, vcc, 0x200, v18
	v_addc_co_u32_e32 v19, vcc, 0, v19, vcc
	s_orn2_b64 s[0:1], s[0:1], exec
	s_branch .LBB15_23
.LBB15_30:                              ;   in Loop: Header=BB15_21 Depth=1
	s_or_b64 exec, exec, s[6:7]
.LBB15_31:                              ;   in Loop: Header=BB15_21 Depth=1
	s_or_b64 exec, exec, s[4:5]
	v_cmp_lt_i64_e32 vcc, v[9:10], v[3:4]
	s_waitcnt lgkmcnt(0)
	s_and_saveexec_b64 s[4:5], vcc
	s_cbranch_execz .LBB15_41
; %bb.32:                               ;   in Loop: Header=BB15_21 Depth=1
	v_lshlrev_b64 v[16:17], 2, v[9:10]
	v_mov_b32_e32 v18, s37
	v_add_co_u32_e32 v16, vcc, s36, v16
	v_addc_co_u32_e32 v17, vcc, v18, v17, vcc
	v_lshlrev_b64 v[18:19], 3, v[9:10]
	v_mov_b32_e32 v32, s22
	v_add_co_u32_e32 v18, vcc, s17, v18
	v_addc_co_u32_e32 v19, vcc, v32, v19, vcc
	s_mov_b64 s[6:7], 0
	s_branch .LBB15_34
.LBB15_33:                              ;   in Loop: Header=BB15_34 Depth=2
	s_or_b64 exec, exec, s[8:9]
	s_and_b64 s[0:1], exec, s[0:1]
	s_or_b64 s[6:7], s[0:1], s[6:7]
	s_andn2_b64 exec, exec, s[6:7]
	s_cbranch_execz .LBB15_40
.LBB15_34:                              ;   Parent Loop BB15_21 Depth=1
                                        ; =>  This Inner Loop Header: Depth=2
	global_load_dword v32, v[16:17], off
	s_waitcnt vmcnt(0)
	v_subrev_u32_e32 v33, s13, v32
	v_sub_u32_e32 v32, v33, v15
	v_cmp_gt_u32_e32 vcc, 64, v32
	v_cmp_lt_u32_e64 s[0:1], 63, v32
	s_and_saveexec_b64 s[8:9], s[0:1]
	s_xor_b64 s[0:1], exec, s[8:9]
	s_cbranch_execnz .LBB15_37
; %bb.35:                               ;   in Loop: Header=BB15_34 Depth=2
	s_andn2_saveexec_b64 s[0:1], s[0:1]
	s_cbranch_execnz .LBB15_38
.LBB15_36:                              ;   in Loop: Header=BB15_34 Depth=2
	s_or_b64 exec, exec, s[0:1]
	s_mov_b64 s[0:1], -1
	s_and_saveexec_b64 s[8:9], vcc
	s_cbranch_execz .LBB15_33
	s_branch .LBB15_39
.LBB15_37:                              ;   in Loop: Header=BB15_34 Depth=2
	v_min_i32_e32 v14, v33, v14
                                        ; implicit-def: $vgpr32
	s_andn2_saveexec_b64 s[0:1], s[0:1]
	s_cbranch_execz .LBB15_36
.LBB15_38:                              ;   in Loop: Header=BB15_34 Depth=2
	global_load_dwordx2 v[33:34], v[18:19], off offset:-4
	v_lshl_add_u32 v37, v32, 3, v22
	ds_read_b64 v[35:36], v37
	v_add_u32_e32 v32, v0, v32
	ds_write_b8 v32, v30
	s_waitcnt vmcnt(0) lgkmcnt(1)
	v_fma_f32 v32, s20, v33, v35
	v_fmac_f32_e32 v36, s21, v33
	v_fma_f32 v35, -s21, v34, v32
	v_fmac_f32_e32 v36, s20, v34
	ds_write_b64 v37, v[35:36]
	s_or_b64 exec, exec, s[0:1]
	s_mov_b64 s[0:1], -1
	s_and_saveexec_b64 s[8:9], vcc
	s_cbranch_execz .LBB15_33
.LBB15_39:                              ;   in Loop: Header=BB15_34 Depth=2
	v_add_co_u32_e32 v9, vcc, 64, v9
	v_addc_co_u32_e32 v10, vcc, 0, v10, vcc
	v_add_co_u32_e32 v16, vcc, 0x100, v16
	v_addc_co_u32_e32 v17, vcc, 0, v17, vcc
	v_cmp_ge_i64_e64 s[0:1], v[9:10], v[3:4]
	v_add_co_u32_e32 v18, vcc, 0x200, v18
	v_addc_co_u32_e32 v19, vcc, 0, v19, vcc
	s_orn2_b64 s[0:1], s[0:1], exec
	s_branch .LBB15_33
.LBB15_40:                              ;   in Loop: Header=BB15_21 Depth=1
	s_or_b64 exec, exec, s[6:7]
.LBB15_41:                              ;   in Loop: Header=BB15_21 Depth=1
	s_or_b64 exec, exec, s[4:5]
	s_waitcnt lgkmcnt(0)
	ds_read_u8 v15, v31
	s_waitcnt lgkmcnt(0)
	v_and_b32_e32 v16, 1, v15
	v_cmp_eq_u32_e64 s[0:1], 1, v16
	v_cmp_ne_u16_e32 vcc, 0, v15
	s_and_saveexec_b64 s[4:5], s[0:1]
	s_cbranch_execz .LBB15_20
; %bb.42:                               ;   in Loop: Header=BB15_21 Depth=1
	v_lshlrev_b64 v[15:16], 3, v[5:6]
	v_mov_b32_e32 v17, s11
	v_add_co_u32_e64 v18, s[0:1], s10, v15
	v_addc_co_u32_e64 v19, s[0:1], v17, v16, s[0:1]
	v_and_b32_e32 v16, vcc_lo, v11
	v_and_b32_e32 v15, vcc_hi, v12
	v_bcnt_u32_b32 v16, v16, 0
	v_bcnt_u32_b32 v15, v15, v16
	v_lshlrev_b32_e32 v17, 3, v15
	ds_read_b64 v[15:16], v29
	v_add_co_u32_e64 v17, s[0:1], v18, v17
	v_addc_co_u32_e64 v18, s[0:1], 0, v19, s[0:1]
	s_waitcnt lgkmcnt(0)
	global_store_dwordx2 v[17:18], v[15:16], off offset:-8
	s_branch .LBB15_20
.LBB15_43:
	s_endpgm
	.section	.rodata,"a",@progbits
	.p2align	6, 0x0
	.amdhsa_kernel _ZN9rocsparseL37csrgeam_fill_numeric_multipass_kernelILj256ELj64Eli21rocsparse_complex_numIfEEEvllNS_24const_host_device_scalarIT3_EEPKT1_PKT2_PKS4_S5_S8_SB_SD_S8_PS4_21rocsparse_index_base_SF_SF_bbb
		.amdhsa_group_segment_fixed_size 2304
		.amdhsa_private_segment_fixed_size 0
		.amdhsa_kernarg_size 112
		.amdhsa_user_sgpr_count 6
		.amdhsa_user_sgpr_private_segment_buffer 1
		.amdhsa_user_sgpr_dispatch_ptr 0
		.amdhsa_user_sgpr_queue_ptr 0
		.amdhsa_user_sgpr_kernarg_segment_ptr 1
		.amdhsa_user_sgpr_dispatch_id 0
		.amdhsa_user_sgpr_flat_scratch_init 0
		.amdhsa_user_sgpr_private_segment_size 0
		.amdhsa_uses_dynamic_stack 0
		.amdhsa_system_sgpr_private_segment_wavefront_offset 0
		.amdhsa_system_sgpr_workgroup_id_x 1
		.amdhsa_system_sgpr_workgroup_id_y 0
		.amdhsa_system_sgpr_workgroup_id_z 0
		.amdhsa_system_sgpr_workgroup_info 0
		.amdhsa_system_vgpr_workitem_id 0
		.amdhsa_next_free_vgpr 38
		.amdhsa_next_free_sgpr 40
		.amdhsa_reserve_vcc 1
		.amdhsa_reserve_flat_scratch 0
		.amdhsa_float_round_mode_32 0
		.amdhsa_float_round_mode_16_64 0
		.amdhsa_float_denorm_mode_32 3
		.amdhsa_float_denorm_mode_16_64 3
		.amdhsa_dx10_clamp 1
		.amdhsa_ieee_mode 1
		.amdhsa_fp16_overflow 0
		.amdhsa_exception_fp_ieee_invalid_op 0
		.amdhsa_exception_fp_denorm_src 0
		.amdhsa_exception_fp_ieee_div_zero 0
		.amdhsa_exception_fp_ieee_overflow 0
		.amdhsa_exception_fp_ieee_underflow 0
		.amdhsa_exception_fp_ieee_inexact 0
		.amdhsa_exception_int_div_zero 0
	.end_amdhsa_kernel
	.section	.text._ZN9rocsparseL37csrgeam_fill_numeric_multipass_kernelILj256ELj64Eli21rocsparse_complex_numIfEEEvllNS_24const_host_device_scalarIT3_EEPKT1_PKT2_PKS4_S5_S8_SB_SD_S8_PS4_21rocsparse_index_base_SF_SF_bbb,"axG",@progbits,_ZN9rocsparseL37csrgeam_fill_numeric_multipass_kernelILj256ELj64Eli21rocsparse_complex_numIfEEEvllNS_24const_host_device_scalarIT3_EEPKT1_PKT2_PKS4_S5_S8_SB_SD_S8_PS4_21rocsparse_index_base_SF_SF_bbb,comdat
.Lfunc_end15:
	.size	_ZN9rocsparseL37csrgeam_fill_numeric_multipass_kernelILj256ELj64Eli21rocsparse_complex_numIfEEEvllNS_24const_host_device_scalarIT3_EEPKT1_PKT2_PKS4_S5_S8_SB_SD_S8_PS4_21rocsparse_index_base_SF_SF_bbb, .Lfunc_end15-_ZN9rocsparseL37csrgeam_fill_numeric_multipass_kernelILj256ELj64Eli21rocsparse_complex_numIfEEEvllNS_24const_host_device_scalarIT3_EEPKT1_PKT2_PKS4_S5_S8_SB_SD_S8_PS4_21rocsparse_index_base_SF_SF_bbb
                                        ; -- End function
	.set _ZN9rocsparseL37csrgeam_fill_numeric_multipass_kernelILj256ELj64Eli21rocsparse_complex_numIfEEEvllNS_24const_host_device_scalarIT3_EEPKT1_PKT2_PKS4_S5_S8_SB_SD_S8_PS4_21rocsparse_index_base_SF_SF_bbb.num_vgpr, 38
	.set _ZN9rocsparseL37csrgeam_fill_numeric_multipass_kernelILj256ELj64Eli21rocsparse_complex_numIfEEEvllNS_24const_host_device_scalarIT3_EEPKT1_PKT2_PKS4_S5_S8_SB_SD_S8_PS4_21rocsparse_index_base_SF_SF_bbb.num_agpr, 0
	.set _ZN9rocsparseL37csrgeam_fill_numeric_multipass_kernelILj256ELj64Eli21rocsparse_complex_numIfEEEvllNS_24const_host_device_scalarIT3_EEPKT1_PKT2_PKS4_S5_S8_SB_SD_S8_PS4_21rocsparse_index_base_SF_SF_bbb.numbered_sgpr, 40
	.set _ZN9rocsparseL37csrgeam_fill_numeric_multipass_kernelILj256ELj64Eli21rocsparse_complex_numIfEEEvllNS_24const_host_device_scalarIT3_EEPKT1_PKT2_PKS4_S5_S8_SB_SD_S8_PS4_21rocsparse_index_base_SF_SF_bbb.num_named_barrier, 0
	.set _ZN9rocsparseL37csrgeam_fill_numeric_multipass_kernelILj256ELj64Eli21rocsparse_complex_numIfEEEvllNS_24const_host_device_scalarIT3_EEPKT1_PKT2_PKS4_S5_S8_SB_SD_S8_PS4_21rocsparse_index_base_SF_SF_bbb.private_seg_size, 0
	.set _ZN9rocsparseL37csrgeam_fill_numeric_multipass_kernelILj256ELj64Eli21rocsparse_complex_numIfEEEvllNS_24const_host_device_scalarIT3_EEPKT1_PKT2_PKS4_S5_S8_SB_SD_S8_PS4_21rocsparse_index_base_SF_SF_bbb.uses_vcc, 1
	.set _ZN9rocsparseL37csrgeam_fill_numeric_multipass_kernelILj256ELj64Eli21rocsparse_complex_numIfEEEvllNS_24const_host_device_scalarIT3_EEPKT1_PKT2_PKS4_S5_S8_SB_SD_S8_PS4_21rocsparse_index_base_SF_SF_bbb.uses_flat_scratch, 0
	.set _ZN9rocsparseL37csrgeam_fill_numeric_multipass_kernelILj256ELj64Eli21rocsparse_complex_numIfEEEvllNS_24const_host_device_scalarIT3_EEPKT1_PKT2_PKS4_S5_S8_SB_SD_S8_PS4_21rocsparse_index_base_SF_SF_bbb.has_dyn_sized_stack, 0
	.set _ZN9rocsparseL37csrgeam_fill_numeric_multipass_kernelILj256ELj64Eli21rocsparse_complex_numIfEEEvllNS_24const_host_device_scalarIT3_EEPKT1_PKT2_PKS4_S5_S8_SB_SD_S8_PS4_21rocsparse_index_base_SF_SF_bbb.has_recursion, 0
	.set _ZN9rocsparseL37csrgeam_fill_numeric_multipass_kernelILj256ELj64Eli21rocsparse_complex_numIfEEEvllNS_24const_host_device_scalarIT3_EEPKT1_PKT2_PKS4_S5_S8_SB_SD_S8_PS4_21rocsparse_index_base_SF_SF_bbb.has_indirect_call, 0
	.section	.AMDGPU.csdata,"",@progbits
; Kernel info:
; codeLenInByte = 1608
; TotalNumSgprs: 44
; NumVgprs: 38
; ScratchSize: 0
; MemoryBound: 0
; FloatMode: 240
; IeeeMode: 1
; LDSByteSize: 2304 bytes/workgroup (compile time only)
; SGPRBlocks: 5
; VGPRBlocks: 9
; NumSGPRsForWavesPerEU: 44
; NumVGPRsForWavesPerEU: 38
; Occupancy: 6
; WaveLimiterHint : 1
; COMPUTE_PGM_RSRC2:SCRATCH_EN: 0
; COMPUTE_PGM_RSRC2:USER_SGPR: 6
; COMPUTE_PGM_RSRC2:TRAP_HANDLER: 0
; COMPUTE_PGM_RSRC2:TGID_X_EN: 1
; COMPUTE_PGM_RSRC2:TGID_Y_EN: 0
; COMPUTE_PGM_RSRC2:TGID_Z_EN: 0
; COMPUTE_PGM_RSRC2:TIDIG_COMP_CNT: 0
	.section	.text._ZN9rocsparseL37csrgeam_fill_numeric_multipass_kernelILj256ELj32Ell21rocsparse_complex_numIfEEEvllNS_24const_host_device_scalarIT3_EEPKT1_PKT2_PKS4_S5_S8_SB_SD_S8_PS4_21rocsparse_index_base_SF_SF_bbb,"axG",@progbits,_ZN9rocsparseL37csrgeam_fill_numeric_multipass_kernelILj256ELj32Ell21rocsparse_complex_numIfEEEvllNS_24const_host_device_scalarIT3_EEPKT1_PKT2_PKS4_S5_S8_SB_SD_S8_PS4_21rocsparse_index_base_SF_SF_bbb,comdat
	.globl	_ZN9rocsparseL37csrgeam_fill_numeric_multipass_kernelILj256ELj32Ell21rocsparse_complex_numIfEEEvllNS_24const_host_device_scalarIT3_EEPKT1_PKT2_PKS4_S5_S8_SB_SD_S8_PS4_21rocsparse_index_base_SF_SF_bbb ; -- Begin function _ZN9rocsparseL37csrgeam_fill_numeric_multipass_kernelILj256ELj32Ell21rocsparse_complex_numIfEEEvllNS_24const_host_device_scalarIT3_EEPKT1_PKT2_PKS4_S5_S8_SB_SD_S8_PS4_21rocsparse_index_base_SF_SF_bbb
	.p2align	8
	.type	_ZN9rocsparseL37csrgeam_fill_numeric_multipass_kernelILj256ELj32Ell21rocsparse_complex_numIfEEEvllNS_24const_host_device_scalarIT3_EEPKT1_PKT2_PKS4_S5_S8_SB_SD_S8_PS4_21rocsparse_index_base_SF_SF_bbb,@function
_ZN9rocsparseL37csrgeam_fill_numeric_multipass_kernelILj256ELj32Ell21rocsparse_complex_numIfEEEvllNS_24const_host_device_scalarIT3_EEPKT1_PKT2_PKS4_S5_S8_SB_SD_S8_PS4_21rocsparse_index_base_SF_SF_bbb: ; @_ZN9rocsparseL37csrgeam_fill_numeric_multipass_kernelILj256ELj32Ell21rocsparse_complex_numIfEEEvllNS_24const_host_device_scalarIT3_EEPKT1_PKT2_PKS4_S5_S8_SB_SD_S8_PS4_21rocsparse_index_base_SF_SF_bbb
; %bb.0:
	s_load_dword s2, s[4:5], 0x6c
	s_load_dwordx8 s[8:15], s[4:5], 0x50
	s_load_dwordx4 s[36:39], s[4:5], 0x40
	s_load_dwordx8 s[16:23], s[4:5], 0x0
	s_load_dwordx8 s[24:31], s[4:5], 0x20
	s_waitcnt lgkmcnt(0)
	s_bitcmp1_b32 s2, 16
	s_cselect_b64 s[0:1], -1, 0
	s_xor_b64 s[0:1], s[0:1], -1
	v_cndmask_b32_e64 v1, 0, 1, s[0:1]
	s_mov_b32 s33, 0
	s_bitcmp0_b32 s15, 0
	v_cmp_ne_u32_e64 s[0:1], 1, v1
	s_mov_b32 s15, 0
	s_cbranch_scc1 .LBB16_6
; %bb.1:
	s_and_b64 vcc, exec, s[0:1]
	s_mov_b32 s15, s20
	s_cbranch_vccnz .LBB16_3
; %bb.2:
	s_load_dword s15, s[20:21], 0x0
.LBB16_3:
	s_and_b64 vcc, exec, s[0:1]
	s_cbranch_vccnz .LBB16_5
; %bb.4:
	s_load_dword s21, s[20:21], 0x4
.LBB16_5:
	s_waitcnt lgkmcnt(0)
	s_mov_b32 s33, s21
.LBB16_6:
	s_bfe_u32 s2, s2, 0x10008
	s_mov_b32 s20, 0
	s_cmp_eq_u32 s2, 0
	s_mov_b32 s21, 0
	s_cbranch_scc1 .LBB16_12
; %bb.7:
	s_and_b64 vcc, exec, s[0:1]
	s_mov_b32 s20, s28
	s_cbranch_vccnz .LBB16_9
; %bb.8:
	s_load_dword s20, s[28:29], 0x0
.LBB16_9:
	s_and_b64 vcc, exec, s[0:1]
	s_cbranch_vccnz .LBB16_11
; %bb.10:
	s_load_dword s29, s[28:29], 0x4
.LBB16_11:
	s_waitcnt lgkmcnt(0)
	s_mov_b32 s21, s29
.LBB16_12:
	s_lshl_b32 s0, s6, 3
	v_lshrrev_b32_e32 v1, 5, v0
	s_and_b32 s0, s0, 0x7fffff8
	v_or_b32_e32 v1, s0, v1
	v_mov_b32_e32 v2, 0
	v_cmp_gt_i64_e32 vcc, s[16:17], v[1:2]
	s_and_saveexec_b64 s[0:1], vcc
	s_cbranch_execz .LBB16_41
; %bb.13:
	v_lshlrev_b32_e32 v9, 3, v1
	global_load_dwordx4 v[1:4], v9, s[22:23]
	global_load_dwordx4 v[5:8], v9, s[30:31]
	global_load_dwordx2 v[11:12], v9, s[8:9]
	v_mov_b32_e32 v13, s18
	v_mov_b32_e32 v14, s19
	s_waitcnt vmcnt(2)
	v_subrev_co_u32_e32 v9, vcc, s12, v1
	v_subbrev_co_u32_e32 v10, vcc, 0, v2, vcc
	v_cmp_lt_i64_e32 vcc, v[1:2], v[3:4]
	s_and_saveexec_b64 s[0:1], vcc
	s_cbranch_execz .LBB16_15
; %bb.14:
	v_lshlrev_b64 v[1:2], 3, v[9:10]
	v_mov_b32_e32 v13, s25
	v_add_co_u32_e32 v1, vcc, s24, v1
	v_addc_co_u32_e32 v2, vcc, v13, v2, vcc
	global_load_dwordx2 v[1:2], v[1:2], off
	s_waitcnt vmcnt(0)
	v_subrev_co_u32_e32 v13, vcc, s12, v1
	v_subbrev_co_u32_e32 v14, vcc, 0, v2, vcc
.LBB16_15:
	s_or_b64 exec, exec, s[0:1]
	s_waitcnt vmcnt(1)
	v_subrev_co_u32_e32 v15, vcc, s13, v5
	v_subbrev_co_u32_e32 v16, vcc, 0, v6, vcc
	v_cmp_lt_i64_e32 vcc, v[5:6], v[7:8]
	v_mov_b32_e32 v17, s18
	s_mov_b32 s16, s13
	v_mov_b32_e32 v18, s19
	s_and_saveexec_b64 s[0:1], vcc
	s_cbranch_execz .LBB16_17
; %bb.16:
	v_lshlrev_b64 v[1:2], 3, v[15:16]
	v_mov_b32_e32 v5, s37
	v_add_co_u32_e32 v1, vcc, s36, v1
	v_addc_co_u32_e32 v2, vcc, v5, v2, vcc
	global_load_dwordx2 v[1:2], v[1:2], off
	s_waitcnt vmcnt(0)
	v_subrev_co_u32_e32 v17, vcc, s16, v1
	v_subbrev_co_u32_e32 v18, vcc, 0, v2, vcc
.LBB16_17:
	s_or_b64 exec, exec, s[0:1]
	v_subrev_co_u32_e32 v1, vcc, s12, v3
	v_subbrev_co_u32_e32 v2, vcc, 0, v4, vcc
	v_subrev_co_u32_e32 v3, vcc, s16, v7
	v_subbrev_co_u32_e32 v4, vcc, 0, v8, vcc
	s_waitcnt vmcnt(0)
	v_subrev_co_u32_e32 v5, vcc, s14, v11
	v_subbrev_co_u32_e32 v6, vcc, 0, v12, vcc
	v_cmp_lt_i64_e32 vcc, v[17:18], v[13:14]
	v_and_b32_e32 v25, 31, v0
	v_cndmask_b32_e32 v14, v14, v18, vcc
	v_cndmask_b32_e32 v13, v13, v17, vcc
	v_add_co_u32_e32 v7, vcc, v9, v25
	v_mbcnt_lo_u32_b32 v11, -1, 0
	v_addc_co_u32_e32 v8, vcc, 0, v10, vcc
	v_mbcnt_hi_u32_b32 v11, -1, v11
	v_add_co_u32_e32 v9, vcc, v15, v25
	v_and_b32_e32 v12, 64, v11
	v_addc_co_u32_e32 v10, vcc, 0, v16, vcc
	v_add_u32_e32 v12, 64, v12
	v_xor_b32_e32 v15, 16, v11
	v_xor_b32_e32 v16, 8, v11
	v_cmp_lt_i32_e32 vcc, v15, v12
	v_xor_b32_e32 v17, 4, v11
	v_cndmask_b32_e32 v15, v11, v15, vcc
	v_cmp_lt_i32_e32 vcc, v16, v12
	v_xor_b32_e32 v18, 2, v11
	v_cndmask_b32_e32 v16, v11, v16, vcc
	;; [unrolled: 3-line block ×3, first 2 shown]
	v_cmp_lt_i32_e32 vcc, v18, v12
	s_add_u32 s13, s26, 4
	v_and_b32_e32 v20, 0xe0, v0
	v_cndmask_b32_e32 v18, v11, v18, vcc
	v_cmp_lt_i32_e32 vcc, v19, v12
	s_addc_u32 s14, s27, 0
	v_cndmask_b32_e32 v11, v11, v19, vcc
	v_lshlrev_b32_e32 v26, 3, v20
	v_xor_b32_e32 v12, 31, v25
	s_add_u32 s17, s38, 4
	v_or_b32_e32 v0, 0x800, v20
	v_lshrrev_b32_e64 v27, v12, -1
	v_lshlrev_b32_e32 v28, 2, v15
	v_lshlrev_b32_e32 v29, 2, v16
	;; [unrolled: 1-line block ×5, first 2 shown]
	s_addc_u32 s22, s39, 0
	s_mov_b64 s[2:3], 0
	v_lshl_or_b32 v33, v25, 3, v26
	v_mov_b32_e32 v34, 1
	v_mov_b32_e32 v11, 0
	s_branch .LBB16_19
.LBB16_18:                              ;   in Loop: Header=BB16_19 Depth=1
	s_or_b64 exec, exec, s[4:5]
	ds_bpermute_b32 v12, v28, v15
	ds_bpermute_b32 v13, v28, v16
	s_bcnt1_i32_b64 s4, vcc
	v_add_co_u32_e32 v5, vcc, s4, v5
	v_addc_co_u32_e32 v6, vcc, 0, v6, vcc
	s_waitcnt lgkmcnt(0)
	v_cmp_lt_i64_e64 s[0:1], v[12:13], v[15:16]
	v_cndmask_b32_e64 v13, v16, v13, s[0:1]
	v_cndmask_b32_e64 v12, v15, v12, s[0:1]
	ds_bpermute_b32 v16, v29, v13
	ds_bpermute_b32 v15, v29, v12
	s_waitcnt lgkmcnt(0)
	v_cmp_lt_i64_e64 s[0:1], v[15:16], v[12:13]
	v_cndmask_b32_e64 v13, v13, v16, s[0:1]
	v_cndmask_b32_e64 v12, v12, v15, s[0:1]
	ds_bpermute_b32 v16, v30, v13
	ds_bpermute_b32 v15, v30, v12
	;; [unrolled: 6-line block ×4, first 2 shown]
	s_waitcnt lgkmcnt(0)
	v_cmp_lt_i64_e64 s[0:1], v[15:16], v[12:13]
	v_cndmask_b32_e64 v14, v13, v16, s[0:1]
	v_cndmask_b32_e64 v13, v12, v15, s[0:1]
	v_cmp_le_i64_e64 s[0:1], s[18:19], v[13:14]
	s_or_b64 s[2:3], s[0:1], s[2:3]
	s_andn2_b64 exec, exec, s[2:3]
	s_cbranch_execz .LBB16_41
.LBB16_19:                              ; =>This Loop Header: Depth=1
                                        ;     Child Loop BB16_22 Depth 2
                                        ;     Child Loop BB16_32 Depth 2
	v_cmp_lt_i64_e32 vcc, v[7:8], v[1:2]
	v_mov_b32_e32 v15, s18
	v_add_u32_e32 v35, v0, v25
	v_mov_b32_e32 v12, v11
	v_mov_b32_e32 v16, s19
	ds_write_b8 v35, v11
	ds_write_b64 v33, v[11:12]
	s_waitcnt lgkmcnt(0)
	s_and_saveexec_b64 s[4:5], vcc
	s_cbranch_execz .LBB16_29
; %bb.20:                               ;   in Loop: Header=BB16_19 Depth=1
	v_lshlrev_b64 v[15:16], 3, v[7:8]
	v_mov_b32_e32 v12, s25
	v_add_co_u32_e32 v17, vcc, s24, v15
	v_addc_co_u32_e32 v18, vcc, v12, v16, vcc
	v_mov_b32_e32 v12, s14
	v_add_co_u32_e32 v19, vcc, s13, v15
	v_addc_co_u32_e32 v20, vcc, v12, v16, vcc
	v_mov_b32_e32 v15, s18
	s_mov_b64 s[6:7], 0
	v_mov_b32_e32 v16, s19
	s_branch .LBB16_22
.LBB16_21:                              ;   in Loop: Header=BB16_22 Depth=2
	s_or_b64 exec, exec, s[8:9]
	s_and_b64 s[0:1], exec, s[0:1]
	s_or_b64 s[6:7], s[0:1], s[6:7]
	s_andn2_b64 exec, exec, s[6:7]
	s_cbranch_execz .LBB16_28
.LBB16_22:                              ;   Parent Loop BB16_19 Depth=1
                                        ; =>  This Inner Loop Header: Depth=2
	global_load_dwordx2 v[21:22], v[17:18], off
	s_waitcnt vmcnt(0)
	v_subrev_co_u32_e32 v23, vcc, s12, v21
	v_subbrev_co_u32_e32 v24, vcc, 0, v22, vcc
	v_sub_co_u32_e32 v21, vcc, v23, v13
	v_subb_co_u32_e32 v22, vcc, v24, v14, vcc
	v_cmp_gt_i64_e32 vcc, 32, v[21:22]
	v_cmp_lt_i64_e64 s[0:1], 31, v[21:22]
	s_and_saveexec_b64 s[8:9], s[0:1]
	s_xor_b64 s[8:9], exec, s[8:9]
	s_cbranch_execnz .LBB16_25
; %bb.23:                               ;   in Loop: Header=BB16_22 Depth=2
	s_andn2_saveexec_b64 s[0:1], s[8:9]
	s_cbranch_execnz .LBB16_26
.LBB16_24:                              ;   in Loop: Header=BB16_22 Depth=2
	s_or_b64 exec, exec, s[0:1]
	s_mov_b64 s[0:1], -1
	s_and_saveexec_b64 s[8:9], vcc
	s_cbranch_execz .LBB16_21
	s_branch .LBB16_27
.LBB16_25:                              ;   in Loop: Header=BB16_22 Depth=2
	v_cmp_lt_i64_e64 s[0:1], v[23:24], v[15:16]
                                        ; implicit-def: $vgpr21
	v_cndmask_b32_e64 v16, v16, v24, s[0:1]
	v_cndmask_b32_e64 v15, v15, v23, s[0:1]
	s_andn2_saveexec_b64 s[0:1], s[8:9]
	s_cbranch_execz .LBB16_24
.LBB16_26:                              ;   in Loop: Header=BB16_22 Depth=2
	global_load_dwordx2 v[22:23], v[19:20], off offset:-4
	v_add_u32_e32 v12, v0, v21
	ds_write_b8 v12, v34
	v_lshl_add_u32 v12, v21, 3, v26
	s_waitcnt vmcnt(0)
	v_mul_f32_e64 v36, v23, -s33
	v_mul_f32_e32 v37, s15, v23
	v_fmac_f32_e32 v36, s15, v22
	v_fmac_f32_e32 v37, s33, v22
	ds_write_b64 v12, v[36:37]
	s_or_b64 exec, exec, s[0:1]
	s_mov_b64 s[0:1], -1
	s_and_saveexec_b64 s[8:9], vcc
	s_cbranch_execz .LBB16_21
.LBB16_27:                              ;   in Loop: Header=BB16_22 Depth=2
	v_add_co_u32_e32 v7, vcc, 32, v7
	v_addc_co_u32_e32 v8, vcc, 0, v8, vcc
	v_add_co_u32_e32 v17, vcc, 0x100, v17
	v_addc_co_u32_e32 v18, vcc, 0, v18, vcc
	v_cmp_ge_i64_e64 s[0:1], v[7:8], v[1:2]
	v_add_co_u32_e32 v19, vcc, 0x100, v19
	v_addc_co_u32_e32 v20, vcc, 0, v20, vcc
	s_orn2_b64 s[0:1], s[0:1], exec
	s_branch .LBB16_21
.LBB16_28:                              ;   in Loop: Header=BB16_19 Depth=1
	s_or_b64 exec, exec, s[6:7]
.LBB16_29:                              ;   in Loop: Header=BB16_19 Depth=1
	s_or_b64 exec, exec, s[4:5]
	v_cmp_lt_i64_e32 vcc, v[9:10], v[3:4]
	s_waitcnt lgkmcnt(0)
	s_and_saveexec_b64 s[4:5], vcc
	s_cbranch_execz .LBB16_39
; %bb.30:                               ;   in Loop: Header=BB16_19 Depth=1
	v_lshlrev_b64 v[19:20], 3, v[9:10]
	v_mov_b32_e32 v12, s37
	v_add_co_u32_e32 v17, vcc, s36, v19
	v_addc_co_u32_e32 v18, vcc, v12, v20, vcc
	v_mov_b32_e32 v12, s22
	v_add_co_u32_e32 v19, vcc, s17, v19
	v_addc_co_u32_e32 v20, vcc, v12, v20, vcc
	s_mov_b64 s[6:7], 0
	s_branch .LBB16_32
.LBB16_31:                              ;   in Loop: Header=BB16_32 Depth=2
	s_or_b64 exec, exec, s[8:9]
	s_and_b64 s[0:1], exec, s[0:1]
	s_or_b64 s[6:7], s[0:1], s[6:7]
	s_andn2_b64 exec, exec, s[6:7]
	s_cbranch_execz .LBB16_38
.LBB16_32:                              ;   Parent Loop BB16_19 Depth=1
                                        ; =>  This Inner Loop Header: Depth=2
	global_load_dwordx2 v[21:22], v[17:18], off
	s_waitcnt vmcnt(0)
	v_subrev_co_u32_e32 v23, vcc, s16, v21
	v_subbrev_co_u32_e32 v24, vcc, 0, v22, vcc
	v_sub_co_u32_e32 v21, vcc, v23, v13
	v_subb_co_u32_e32 v22, vcc, v24, v14, vcc
	v_cmp_gt_i64_e32 vcc, 32, v[21:22]
	v_cmp_lt_i64_e64 s[0:1], 31, v[21:22]
	s_and_saveexec_b64 s[8:9], s[0:1]
	s_xor_b64 s[8:9], exec, s[8:9]
	s_cbranch_execnz .LBB16_35
; %bb.33:                               ;   in Loop: Header=BB16_32 Depth=2
	s_andn2_saveexec_b64 s[0:1], s[8:9]
	s_cbranch_execnz .LBB16_36
.LBB16_34:                              ;   in Loop: Header=BB16_32 Depth=2
	s_or_b64 exec, exec, s[0:1]
	s_mov_b64 s[0:1], -1
	s_and_saveexec_b64 s[8:9], vcc
	s_cbranch_execz .LBB16_31
	s_branch .LBB16_37
.LBB16_35:                              ;   in Loop: Header=BB16_32 Depth=2
	v_cmp_lt_i64_e64 s[0:1], v[23:24], v[15:16]
                                        ; implicit-def: $vgpr21
	v_cndmask_b32_e64 v16, v16, v24, s[0:1]
	v_cndmask_b32_e64 v15, v15, v23, s[0:1]
	s_andn2_saveexec_b64 s[0:1], s[8:9]
	s_cbranch_execz .LBB16_34
.LBB16_36:                              ;   in Loop: Header=BB16_32 Depth=2
	global_load_dwordx2 v[22:23], v[19:20], off offset:-4
	v_lshl_add_u32 v12, v21, 3, v26
	ds_read_b64 v[36:37], v12
	v_add_u32_e32 v21, v0, v21
	ds_write_b8 v21, v34
	s_waitcnt vmcnt(0) lgkmcnt(1)
	v_fma_f32 v21, s20, v22, v36
	v_fmac_f32_e32 v37, s21, v22
	v_fma_f32 v36, -s21, v23, v21
	v_fmac_f32_e32 v37, s20, v23
	ds_write_b64 v12, v[36:37]
	s_or_b64 exec, exec, s[0:1]
	s_mov_b64 s[0:1], -1
	s_and_saveexec_b64 s[8:9], vcc
	s_cbranch_execz .LBB16_31
.LBB16_37:                              ;   in Loop: Header=BB16_32 Depth=2
	v_add_co_u32_e32 v9, vcc, 32, v9
	v_addc_co_u32_e32 v10, vcc, 0, v10, vcc
	v_add_co_u32_e32 v17, vcc, 0x100, v17
	v_addc_co_u32_e32 v18, vcc, 0, v18, vcc
	v_cmp_ge_i64_e64 s[0:1], v[9:10], v[3:4]
	v_add_co_u32_e32 v19, vcc, 0x100, v19
	v_addc_co_u32_e32 v20, vcc, 0, v20, vcc
	s_orn2_b64 s[0:1], s[0:1], exec
	s_branch .LBB16_31
.LBB16_38:                              ;   in Loop: Header=BB16_19 Depth=1
	s_or_b64 exec, exec, s[6:7]
.LBB16_39:                              ;   in Loop: Header=BB16_19 Depth=1
	s_or_b64 exec, exec, s[4:5]
	s_waitcnt lgkmcnt(0)
	ds_read_u8 v12, v35
	s_waitcnt lgkmcnt(0)
	v_and_b32_e32 v13, 1, v12
	v_cmp_eq_u32_e64 s[0:1], 1, v13
	v_cmp_ne_u16_e32 vcc, 0, v12
	s_and_saveexec_b64 s[4:5], s[0:1]
	s_cbranch_execz .LBB16_18
; %bb.40:                               ;   in Loop: Header=BB16_19 Depth=1
	v_lshlrev_b64 v[12:13], 3, v[5:6]
	v_mov_b32_e32 v14, s11
	v_add_co_u32_e64 v17, s[0:1], s10, v12
	v_and_b32_e32 v12, vcc_lo, v27
	v_bcnt_u32_b32 v12, v12, 0
	v_addc_co_u32_e64 v14, s[0:1], v14, v13, s[0:1]
	v_lshlrev_b32_e32 v18, 3, v12
	ds_read_b64 v[12:13], v33
	v_add_co_u32_e64 v17, s[0:1], v17, v18
	v_addc_co_u32_e64 v18, s[0:1], 0, v14, s[0:1]
	s_waitcnt lgkmcnt(0)
	global_store_dwordx2 v[17:18], v[12:13], off offset:-8
	s_branch .LBB16_18
.LBB16_41:
	s_endpgm
	.section	.rodata,"a",@progbits
	.p2align	6, 0x0
	.amdhsa_kernel _ZN9rocsparseL37csrgeam_fill_numeric_multipass_kernelILj256ELj32Ell21rocsparse_complex_numIfEEEvllNS_24const_host_device_scalarIT3_EEPKT1_PKT2_PKS4_S5_S8_SB_SD_S8_PS4_21rocsparse_index_base_SF_SF_bbb
		.amdhsa_group_segment_fixed_size 2304
		.amdhsa_private_segment_fixed_size 0
		.amdhsa_kernarg_size 112
		.amdhsa_user_sgpr_count 6
		.amdhsa_user_sgpr_private_segment_buffer 1
		.amdhsa_user_sgpr_dispatch_ptr 0
		.amdhsa_user_sgpr_queue_ptr 0
		.amdhsa_user_sgpr_kernarg_segment_ptr 1
		.amdhsa_user_sgpr_dispatch_id 0
		.amdhsa_user_sgpr_flat_scratch_init 0
		.amdhsa_user_sgpr_private_segment_size 0
		.amdhsa_uses_dynamic_stack 0
		.amdhsa_system_sgpr_private_segment_wavefront_offset 0
		.amdhsa_system_sgpr_workgroup_id_x 1
		.amdhsa_system_sgpr_workgroup_id_y 0
		.amdhsa_system_sgpr_workgroup_id_z 0
		.amdhsa_system_sgpr_workgroup_info 0
		.amdhsa_system_vgpr_workitem_id 0
		.amdhsa_next_free_vgpr 38
		.amdhsa_next_free_sgpr 40
		.amdhsa_reserve_vcc 1
		.amdhsa_reserve_flat_scratch 0
		.amdhsa_float_round_mode_32 0
		.amdhsa_float_round_mode_16_64 0
		.amdhsa_float_denorm_mode_32 3
		.amdhsa_float_denorm_mode_16_64 3
		.amdhsa_dx10_clamp 1
		.amdhsa_ieee_mode 1
		.amdhsa_fp16_overflow 0
		.amdhsa_exception_fp_ieee_invalid_op 0
		.amdhsa_exception_fp_denorm_src 0
		.amdhsa_exception_fp_ieee_div_zero 0
		.amdhsa_exception_fp_ieee_overflow 0
		.amdhsa_exception_fp_ieee_underflow 0
		.amdhsa_exception_fp_ieee_inexact 0
		.amdhsa_exception_int_div_zero 0
	.end_amdhsa_kernel
	.section	.text._ZN9rocsparseL37csrgeam_fill_numeric_multipass_kernelILj256ELj32Ell21rocsparse_complex_numIfEEEvllNS_24const_host_device_scalarIT3_EEPKT1_PKT2_PKS4_S5_S8_SB_SD_S8_PS4_21rocsparse_index_base_SF_SF_bbb,"axG",@progbits,_ZN9rocsparseL37csrgeam_fill_numeric_multipass_kernelILj256ELj32Ell21rocsparse_complex_numIfEEEvllNS_24const_host_device_scalarIT3_EEPKT1_PKT2_PKS4_S5_S8_SB_SD_S8_PS4_21rocsparse_index_base_SF_SF_bbb,comdat
.Lfunc_end16:
	.size	_ZN9rocsparseL37csrgeam_fill_numeric_multipass_kernelILj256ELj32Ell21rocsparse_complex_numIfEEEvllNS_24const_host_device_scalarIT3_EEPKT1_PKT2_PKS4_S5_S8_SB_SD_S8_PS4_21rocsparse_index_base_SF_SF_bbb, .Lfunc_end16-_ZN9rocsparseL37csrgeam_fill_numeric_multipass_kernelILj256ELj32Ell21rocsparse_complex_numIfEEEvllNS_24const_host_device_scalarIT3_EEPKT1_PKT2_PKS4_S5_S8_SB_SD_S8_PS4_21rocsparse_index_base_SF_SF_bbb
                                        ; -- End function
	.set _ZN9rocsparseL37csrgeam_fill_numeric_multipass_kernelILj256ELj32Ell21rocsparse_complex_numIfEEEvllNS_24const_host_device_scalarIT3_EEPKT1_PKT2_PKS4_S5_S8_SB_SD_S8_PS4_21rocsparse_index_base_SF_SF_bbb.num_vgpr, 38
	.set _ZN9rocsparseL37csrgeam_fill_numeric_multipass_kernelILj256ELj32Ell21rocsparse_complex_numIfEEEvllNS_24const_host_device_scalarIT3_EEPKT1_PKT2_PKS4_S5_S8_SB_SD_S8_PS4_21rocsparse_index_base_SF_SF_bbb.num_agpr, 0
	.set _ZN9rocsparseL37csrgeam_fill_numeric_multipass_kernelILj256ELj32Ell21rocsparse_complex_numIfEEEvllNS_24const_host_device_scalarIT3_EEPKT1_PKT2_PKS4_S5_S8_SB_SD_S8_PS4_21rocsparse_index_base_SF_SF_bbb.numbered_sgpr, 40
	.set _ZN9rocsparseL37csrgeam_fill_numeric_multipass_kernelILj256ELj32Ell21rocsparse_complex_numIfEEEvllNS_24const_host_device_scalarIT3_EEPKT1_PKT2_PKS4_S5_S8_SB_SD_S8_PS4_21rocsparse_index_base_SF_SF_bbb.num_named_barrier, 0
	.set _ZN9rocsparseL37csrgeam_fill_numeric_multipass_kernelILj256ELj32Ell21rocsparse_complex_numIfEEEvllNS_24const_host_device_scalarIT3_EEPKT1_PKT2_PKS4_S5_S8_SB_SD_S8_PS4_21rocsparse_index_base_SF_SF_bbb.private_seg_size, 0
	.set _ZN9rocsparseL37csrgeam_fill_numeric_multipass_kernelILj256ELj32Ell21rocsparse_complex_numIfEEEvllNS_24const_host_device_scalarIT3_EEPKT1_PKT2_PKS4_S5_S8_SB_SD_S8_PS4_21rocsparse_index_base_SF_SF_bbb.uses_vcc, 1
	.set _ZN9rocsparseL37csrgeam_fill_numeric_multipass_kernelILj256ELj32Ell21rocsparse_complex_numIfEEEvllNS_24const_host_device_scalarIT3_EEPKT1_PKT2_PKS4_S5_S8_SB_SD_S8_PS4_21rocsparse_index_base_SF_SF_bbb.uses_flat_scratch, 0
	.set _ZN9rocsparseL37csrgeam_fill_numeric_multipass_kernelILj256ELj32Ell21rocsparse_complex_numIfEEEvllNS_24const_host_device_scalarIT3_EEPKT1_PKT2_PKS4_S5_S8_SB_SD_S8_PS4_21rocsparse_index_base_SF_SF_bbb.has_dyn_sized_stack, 0
	.set _ZN9rocsparseL37csrgeam_fill_numeric_multipass_kernelILj256ELj32Ell21rocsparse_complex_numIfEEEvllNS_24const_host_device_scalarIT3_EEPKT1_PKT2_PKS4_S5_S8_SB_SD_S8_PS4_21rocsparse_index_base_SF_SF_bbb.has_recursion, 0
	.set _ZN9rocsparseL37csrgeam_fill_numeric_multipass_kernelILj256ELj32Ell21rocsparse_complex_numIfEEEvllNS_24const_host_device_scalarIT3_EEPKT1_PKT2_PKS4_S5_S8_SB_SD_S8_PS4_21rocsparse_index_base_SF_SF_bbb.has_indirect_call, 0
	.section	.AMDGPU.csdata,"",@progbits
; Kernel info:
; codeLenInByte = 1732
; TotalNumSgprs: 44
; NumVgprs: 38
; ScratchSize: 0
; MemoryBound: 0
; FloatMode: 240
; IeeeMode: 1
; LDSByteSize: 2304 bytes/workgroup (compile time only)
; SGPRBlocks: 5
; VGPRBlocks: 9
; NumSGPRsForWavesPerEU: 44
; NumVGPRsForWavesPerEU: 38
; Occupancy: 6
; WaveLimiterHint : 1
; COMPUTE_PGM_RSRC2:SCRATCH_EN: 0
; COMPUTE_PGM_RSRC2:USER_SGPR: 6
; COMPUTE_PGM_RSRC2:TRAP_HANDLER: 0
; COMPUTE_PGM_RSRC2:TGID_X_EN: 1
; COMPUTE_PGM_RSRC2:TGID_Y_EN: 0
; COMPUTE_PGM_RSRC2:TGID_Z_EN: 0
; COMPUTE_PGM_RSRC2:TIDIG_COMP_CNT: 0
	.section	.text._ZN9rocsparseL37csrgeam_fill_numeric_multipass_kernelILj256ELj64Ell21rocsparse_complex_numIfEEEvllNS_24const_host_device_scalarIT3_EEPKT1_PKT2_PKS4_S5_S8_SB_SD_S8_PS4_21rocsparse_index_base_SF_SF_bbb,"axG",@progbits,_ZN9rocsparseL37csrgeam_fill_numeric_multipass_kernelILj256ELj64Ell21rocsparse_complex_numIfEEEvllNS_24const_host_device_scalarIT3_EEPKT1_PKT2_PKS4_S5_S8_SB_SD_S8_PS4_21rocsparse_index_base_SF_SF_bbb,comdat
	.globl	_ZN9rocsparseL37csrgeam_fill_numeric_multipass_kernelILj256ELj64Ell21rocsparse_complex_numIfEEEvllNS_24const_host_device_scalarIT3_EEPKT1_PKT2_PKS4_S5_S8_SB_SD_S8_PS4_21rocsparse_index_base_SF_SF_bbb ; -- Begin function _ZN9rocsparseL37csrgeam_fill_numeric_multipass_kernelILj256ELj64Ell21rocsparse_complex_numIfEEEvllNS_24const_host_device_scalarIT3_EEPKT1_PKT2_PKS4_S5_S8_SB_SD_S8_PS4_21rocsparse_index_base_SF_SF_bbb
	.p2align	8
	.type	_ZN9rocsparseL37csrgeam_fill_numeric_multipass_kernelILj256ELj64Ell21rocsparse_complex_numIfEEEvllNS_24const_host_device_scalarIT3_EEPKT1_PKT2_PKS4_S5_S8_SB_SD_S8_PS4_21rocsparse_index_base_SF_SF_bbb,@function
_ZN9rocsparseL37csrgeam_fill_numeric_multipass_kernelILj256ELj64Ell21rocsparse_complex_numIfEEEvllNS_24const_host_device_scalarIT3_EEPKT1_PKT2_PKS4_S5_S8_SB_SD_S8_PS4_21rocsparse_index_base_SF_SF_bbb: ; @_ZN9rocsparseL37csrgeam_fill_numeric_multipass_kernelILj256ELj64Ell21rocsparse_complex_numIfEEEvllNS_24const_host_device_scalarIT3_EEPKT1_PKT2_PKS4_S5_S8_SB_SD_S8_PS4_21rocsparse_index_base_SF_SF_bbb
; %bb.0:
	s_load_dword s2, s[4:5], 0x6c
	s_load_dwordx8 s[8:15], s[4:5], 0x50
	s_load_dwordx4 s[36:39], s[4:5], 0x40
	s_load_dwordx8 s[16:23], s[4:5], 0x0
	s_load_dwordx8 s[24:31], s[4:5], 0x20
	s_waitcnt lgkmcnt(0)
	s_bitcmp1_b32 s2, 16
	s_cselect_b64 s[0:1], -1, 0
	s_xor_b64 s[0:1], s[0:1], -1
	v_cndmask_b32_e64 v1, 0, 1, s[0:1]
	s_mov_b32 s33, 0
	s_bitcmp0_b32 s15, 0
	v_cmp_ne_u32_e64 s[0:1], 1, v1
	s_mov_b32 s15, 0
	s_cbranch_scc1 .LBB17_6
; %bb.1:
	s_and_b64 vcc, exec, s[0:1]
	s_mov_b32 s15, s20
	s_cbranch_vccnz .LBB17_3
; %bb.2:
	s_load_dword s15, s[20:21], 0x0
.LBB17_3:
	s_and_b64 vcc, exec, s[0:1]
	s_cbranch_vccnz .LBB17_5
; %bb.4:
	s_load_dword s21, s[20:21], 0x4
.LBB17_5:
	s_waitcnt lgkmcnt(0)
	s_mov_b32 s33, s21
.LBB17_6:
	s_bfe_u32 s2, s2, 0x10008
	s_mov_b32 s20, 0
	s_cmp_eq_u32 s2, 0
	s_mov_b32 s21, 0
	s_cbranch_scc1 .LBB17_12
; %bb.7:
	s_and_b64 vcc, exec, s[0:1]
	s_mov_b32 s20, s28
	s_cbranch_vccnz .LBB17_9
; %bb.8:
	s_load_dword s20, s[28:29], 0x0
.LBB17_9:
	s_and_b64 vcc, exec, s[0:1]
	s_cbranch_vccnz .LBB17_11
; %bb.10:
	s_load_dword s29, s[28:29], 0x4
.LBB17_11:
	s_waitcnt lgkmcnt(0)
	s_mov_b32 s21, s29
.LBB17_12:
	s_lshl_b32 s0, s6, 2
	v_lshrrev_b32_e32 v1, 6, v0
	s_and_b32 s0, s0, 0x3fffffc
	v_or_b32_e32 v1, s0, v1
	v_mov_b32_e32 v2, 0
	v_cmp_gt_i64_e32 vcc, s[16:17], v[1:2]
	s_and_saveexec_b64 s[0:1], vcc
	s_cbranch_execz .LBB17_41
; %bb.13:
	v_lshlrev_b32_e32 v9, 3, v1
	global_load_dwordx4 v[1:4], v9, s[22:23]
	global_load_dwordx4 v[5:8], v9, s[30:31]
	global_load_dwordx2 v[11:12], v9, s[8:9]
	v_mov_b32_e32 v13, s18
	v_mov_b32_e32 v14, s19
	s_waitcnt vmcnt(2)
	v_subrev_co_u32_e32 v9, vcc, s12, v1
	v_subbrev_co_u32_e32 v10, vcc, 0, v2, vcc
	v_cmp_lt_i64_e32 vcc, v[1:2], v[3:4]
	s_and_saveexec_b64 s[0:1], vcc
	s_cbranch_execz .LBB17_15
; %bb.14:
	v_lshlrev_b64 v[1:2], 3, v[9:10]
	v_mov_b32_e32 v13, s25
	v_add_co_u32_e32 v1, vcc, s24, v1
	v_addc_co_u32_e32 v2, vcc, v13, v2, vcc
	global_load_dwordx2 v[1:2], v[1:2], off
	s_waitcnt vmcnt(0)
	v_subrev_co_u32_e32 v13, vcc, s12, v1
	v_subbrev_co_u32_e32 v14, vcc, 0, v2, vcc
.LBB17_15:
	s_or_b64 exec, exec, s[0:1]
	s_waitcnt vmcnt(1)
	v_subrev_co_u32_e32 v17, vcc, s13, v5
	v_subbrev_co_u32_e32 v18, vcc, 0, v6, vcc
	v_cmp_lt_i64_e32 vcc, v[5:6], v[7:8]
	v_mov_b32_e32 v15, s18
	s_mov_b32 s16, s13
	v_mov_b32_e32 v16, s19
	s_and_saveexec_b64 s[0:1], vcc
	s_cbranch_execz .LBB17_17
; %bb.16:
	v_lshlrev_b64 v[1:2], 3, v[17:18]
	v_mov_b32_e32 v5, s37
	v_add_co_u32_e32 v1, vcc, s36, v1
	v_addc_co_u32_e32 v2, vcc, v5, v2, vcc
	global_load_dwordx2 v[1:2], v[1:2], off
	s_waitcnt vmcnt(0)
	v_subrev_co_u32_e32 v15, vcc, s16, v1
	v_subbrev_co_u32_e32 v16, vcc, 0, v2, vcc
.LBB17_17:
	s_or_b64 exec, exec, s[0:1]
	v_subrev_co_u32_e32 v1, vcc, s12, v3
	v_subbrev_co_u32_e32 v2, vcc, 0, v4, vcc
	v_subrev_co_u32_e32 v3, vcc, s16, v7
	v_subbrev_co_u32_e32 v4, vcc, 0, v8, vcc
	s_waitcnt vmcnt(0)
	v_subrev_co_u32_e32 v5, vcc, s14, v11
	v_subbrev_co_u32_e32 v6, vcc, 0, v12, vcc
	v_cmp_lt_i64_e32 vcc, v[15:16], v[13:14]
	v_and_b32_e32 v27, 63, v0
	v_cndmask_b32_e32 v16, v14, v16, vcc
	v_cndmask_b32_e32 v15, v13, v15, vcc
	v_add_co_u32_e32 v7, vcc, v9, v27
	v_mbcnt_lo_u32_b32 v11, -1, 0
	v_addc_co_u32_e32 v8, vcc, 0, v10, vcc
	v_mbcnt_hi_u32_b32 v11, -1, v11
	v_add_co_u32_e32 v9, vcc, v17, v27
	v_and_b32_e32 v12, 64, v11
	v_addc_co_u32_e32 v10, vcc, 0, v18, vcc
	v_add_u32_e32 v12, 64, v12
	v_xor_b32_e32 v20, 32, v11
	v_xor_b32_e32 v13, 16, v11
	v_cmp_lt_i32_e32 vcc, v20, v12
	v_xor_b32_e32 v14, 8, v11
	v_cndmask_b32_e32 v20, v11, v20, vcc
	v_cmp_lt_i32_e32 vcc, v13, v12
	v_xor_b32_e32 v17, 4, v11
	v_cndmask_b32_e32 v13, v11, v13, vcc
	;; [unrolled: 3-line block ×4, first 2 shown]
	v_cmp_lt_i32_e32 vcc, v18, v12
	v_cndmask_b32_e32 v18, v11, v18, vcc
	v_cmp_lt_i32_e32 vcc, v19, v12
	v_cndmask_b32_e32 v11, v11, v19, vcc
	s_add_u32 s13, s26, 4
	v_and_b32_e32 v12, 0xc0, v0
	v_lshlrev_b32_e32 v34, 2, v11
	s_addc_u32 s14, s27, 0
	v_xor_b32_e32 v11, 63, v27
	v_or_b32_e32 v0, 0x800, v12
	v_lshlrev_b32_e32 v28, 3, v12
	s_add_u32 s17, s38, 4
	v_lshrrev_b64 v[11:12], v11, -1
	v_lshlrev_b32_e32 v29, 2, v20
	v_lshlrev_b32_e32 v30, 2, v13
	;; [unrolled: 1-line block ×5, first 2 shown]
	s_addc_u32 s22, s39, 0
	s_mov_b64 s[2:3], 0
	v_lshl_or_b32 v35, v27, 3, v28
	v_mov_b32_e32 v36, 1
	v_mov_b32_e32 v13, 0
	s_branch .LBB17_19
.LBB17_18:                              ;   in Loop: Header=BB17_19 Depth=1
	s_or_b64 exec, exec, s[4:5]
	ds_bpermute_b32 v14, v29, v17
	ds_bpermute_b32 v15, v29, v18
	s_bcnt1_i32_b64 s4, vcc
	v_add_co_u32_e32 v5, vcc, s4, v5
	v_addc_co_u32_e32 v6, vcc, 0, v6, vcc
	s_waitcnt lgkmcnt(0)
	v_cmp_lt_i64_e64 s[0:1], v[14:15], v[17:18]
	v_cndmask_b32_e64 v15, v18, v15, s[0:1]
	v_cndmask_b32_e64 v14, v17, v14, s[0:1]
	ds_bpermute_b32 v18, v30, v15
	ds_bpermute_b32 v17, v30, v14
	s_waitcnt lgkmcnt(0)
	v_cmp_lt_i64_e64 s[0:1], v[17:18], v[14:15]
	v_cndmask_b32_e64 v15, v15, v18, s[0:1]
	v_cndmask_b32_e64 v14, v14, v17, s[0:1]
	ds_bpermute_b32 v18, v31, v15
	ds_bpermute_b32 v17, v31, v14
	;; [unrolled: 6-line block ×5, first 2 shown]
	s_waitcnt lgkmcnt(0)
	v_cmp_lt_i64_e64 s[0:1], v[17:18], v[14:15]
	v_cndmask_b32_e64 v16, v15, v18, s[0:1]
	v_cndmask_b32_e64 v15, v14, v17, s[0:1]
	v_cmp_le_i64_e64 s[0:1], s[18:19], v[15:16]
	s_or_b64 s[2:3], s[0:1], s[2:3]
	s_andn2_b64 exec, exec, s[2:3]
	s_cbranch_execz .LBB17_41
.LBB17_19:                              ; =>This Loop Header: Depth=1
                                        ;     Child Loop BB17_22 Depth 2
                                        ;     Child Loop BB17_32 Depth 2
	v_cmp_lt_i64_e32 vcc, v[7:8], v[1:2]
	v_mov_b32_e32 v17, s18
	v_add_u32_e32 v37, v0, v27
	v_mov_b32_e32 v14, v13
	v_mov_b32_e32 v18, s19
	ds_write_b8 v37, v13
	ds_write_b64 v35, v[13:14]
	s_waitcnt lgkmcnt(0)
	s_and_saveexec_b64 s[4:5], vcc
	s_cbranch_execz .LBB17_29
; %bb.20:                               ;   in Loop: Header=BB17_19 Depth=1
	v_lshlrev_b64 v[17:18], 3, v[7:8]
	v_mov_b32_e32 v14, s25
	v_add_co_u32_e32 v19, vcc, s24, v17
	v_addc_co_u32_e32 v20, vcc, v14, v18, vcc
	v_mov_b32_e32 v14, s14
	v_add_co_u32_e32 v21, vcc, s13, v17
	v_addc_co_u32_e32 v22, vcc, v14, v18, vcc
	v_mov_b32_e32 v17, s18
	s_mov_b64 s[6:7], 0
	v_mov_b32_e32 v18, s19
	s_branch .LBB17_22
.LBB17_21:                              ;   in Loop: Header=BB17_22 Depth=2
	s_or_b64 exec, exec, s[8:9]
	s_and_b64 s[0:1], exec, s[0:1]
	s_or_b64 s[6:7], s[0:1], s[6:7]
	s_andn2_b64 exec, exec, s[6:7]
	s_cbranch_execz .LBB17_28
.LBB17_22:                              ;   Parent Loop BB17_19 Depth=1
                                        ; =>  This Inner Loop Header: Depth=2
	global_load_dwordx2 v[23:24], v[19:20], off
	s_waitcnt vmcnt(0)
	v_subrev_co_u32_e32 v25, vcc, s12, v23
	v_subbrev_co_u32_e32 v26, vcc, 0, v24, vcc
	v_sub_co_u32_e32 v23, vcc, v25, v15
	v_subb_co_u32_e32 v24, vcc, v26, v16, vcc
	v_cmp_gt_i64_e32 vcc, 64, v[23:24]
	v_cmp_lt_i64_e64 s[0:1], 63, v[23:24]
	s_and_saveexec_b64 s[8:9], s[0:1]
	s_xor_b64 s[8:9], exec, s[8:9]
	s_cbranch_execnz .LBB17_25
; %bb.23:                               ;   in Loop: Header=BB17_22 Depth=2
	s_andn2_saveexec_b64 s[0:1], s[8:9]
	s_cbranch_execnz .LBB17_26
.LBB17_24:                              ;   in Loop: Header=BB17_22 Depth=2
	s_or_b64 exec, exec, s[0:1]
	s_mov_b64 s[0:1], -1
	s_and_saveexec_b64 s[8:9], vcc
	s_cbranch_execz .LBB17_21
	s_branch .LBB17_27
.LBB17_25:                              ;   in Loop: Header=BB17_22 Depth=2
	v_cmp_lt_i64_e64 s[0:1], v[25:26], v[17:18]
                                        ; implicit-def: $vgpr23
	v_cndmask_b32_e64 v18, v18, v26, s[0:1]
	v_cndmask_b32_e64 v17, v17, v25, s[0:1]
	s_andn2_saveexec_b64 s[0:1], s[8:9]
	s_cbranch_execz .LBB17_24
.LBB17_26:                              ;   in Loop: Header=BB17_22 Depth=2
	global_load_dwordx2 v[24:25], v[21:22], off offset:-4
	v_add_u32_e32 v14, v0, v23
	ds_write_b8 v14, v36
	v_lshl_add_u32 v14, v23, 3, v28
	s_waitcnt vmcnt(0)
	v_mul_f32_e64 v38, v25, -s33
	v_mul_f32_e32 v39, s15, v25
	v_fmac_f32_e32 v38, s15, v24
	v_fmac_f32_e32 v39, s33, v24
	ds_write_b64 v14, v[38:39]
	s_or_b64 exec, exec, s[0:1]
	s_mov_b64 s[0:1], -1
	s_and_saveexec_b64 s[8:9], vcc
	s_cbranch_execz .LBB17_21
.LBB17_27:                              ;   in Loop: Header=BB17_22 Depth=2
	v_add_co_u32_e32 v7, vcc, 64, v7
	v_addc_co_u32_e32 v8, vcc, 0, v8, vcc
	v_add_co_u32_e32 v19, vcc, 0x200, v19
	v_addc_co_u32_e32 v20, vcc, 0, v20, vcc
	v_cmp_ge_i64_e64 s[0:1], v[7:8], v[1:2]
	v_add_co_u32_e32 v21, vcc, 0x200, v21
	v_addc_co_u32_e32 v22, vcc, 0, v22, vcc
	s_orn2_b64 s[0:1], s[0:1], exec
	s_branch .LBB17_21
.LBB17_28:                              ;   in Loop: Header=BB17_19 Depth=1
	s_or_b64 exec, exec, s[6:7]
.LBB17_29:                              ;   in Loop: Header=BB17_19 Depth=1
	s_or_b64 exec, exec, s[4:5]
	v_cmp_lt_i64_e32 vcc, v[9:10], v[3:4]
	s_waitcnt lgkmcnt(0)
	s_and_saveexec_b64 s[4:5], vcc
	s_cbranch_execz .LBB17_39
; %bb.30:                               ;   in Loop: Header=BB17_19 Depth=1
	v_lshlrev_b64 v[21:22], 3, v[9:10]
	v_mov_b32_e32 v14, s37
	v_add_co_u32_e32 v19, vcc, s36, v21
	v_addc_co_u32_e32 v20, vcc, v14, v22, vcc
	v_mov_b32_e32 v14, s22
	v_add_co_u32_e32 v21, vcc, s17, v21
	v_addc_co_u32_e32 v22, vcc, v14, v22, vcc
	s_mov_b64 s[6:7], 0
	s_branch .LBB17_32
.LBB17_31:                              ;   in Loop: Header=BB17_32 Depth=2
	s_or_b64 exec, exec, s[8:9]
	s_and_b64 s[0:1], exec, s[0:1]
	s_or_b64 s[6:7], s[0:1], s[6:7]
	s_andn2_b64 exec, exec, s[6:7]
	s_cbranch_execz .LBB17_38
.LBB17_32:                              ;   Parent Loop BB17_19 Depth=1
                                        ; =>  This Inner Loop Header: Depth=2
	global_load_dwordx2 v[23:24], v[19:20], off
	s_waitcnt vmcnt(0)
	v_subrev_co_u32_e32 v25, vcc, s16, v23
	v_subbrev_co_u32_e32 v26, vcc, 0, v24, vcc
	v_sub_co_u32_e32 v23, vcc, v25, v15
	v_subb_co_u32_e32 v24, vcc, v26, v16, vcc
	v_cmp_gt_i64_e32 vcc, 64, v[23:24]
	v_cmp_lt_i64_e64 s[0:1], 63, v[23:24]
	s_and_saveexec_b64 s[8:9], s[0:1]
	s_xor_b64 s[8:9], exec, s[8:9]
	s_cbranch_execnz .LBB17_35
; %bb.33:                               ;   in Loop: Header=BB17_32 Depth=2
	s_andn2_saveexec_b64 s[0:1], s[8:9]
	s_cbranch_execnz .LBB17_36
.LBB17_34:                              ;   in Loop: Header=BB17_32 Depth=2
	s_or_b64 exec, exec, s[0:1]
	s_mov_b64 s[0:1], -1
	s_and_saveexec_b64 s[8:9], vcc
	s_cbranch_execz .LBB17_31
	s_branch .LBB17_37
.LBB17_35:                              ;   in Loop: Header=BB17_32 Depth=2
	v_cmp_lt_i64_e64 s[0:1], v[25:26], v[17:18]
                                        ; implicit-def: $vgpr23
	v_cndmask_b32_e64 v18, v18, v26, s[0:1]
	v_cndmask_b32_e64 v17, v17, v25, s[0:1]
	s_andn2_saveexec_b64 s[0:1], s[8:9]
	s_cbranch_execz .LBB17_34
.LBB17_36:                              ;   in Loop: Header=BB17_32 Depth=2
	global_load_dwordx2 v[24:25], v[21:22], off offset:-4
	v_lshl_add_u32 v14, v23, 3, v28
	ds_read_b64 v[38:39], v14
	v_add_u32_e32 v23, v0, v23
	ds_write_b8 v23, v36
	s_waitcnt vmcnt(0) lgkmcnt(1)
	v_fma_f32 v23, s20, v24, v38
	v_fmac_f32_e32 v39, s21, v24
	v_fma_f32 v38, -s21, v25, v23
	v_fmac_f32_e32 v39, s20, v25
	ds_write_b64 v14, v[38:39]
	s_or_b64 exec, exec, s[0:1]
	s_mov_b64 s[0:1], -1
	s_and_saveexec_b64 s[8:9], vcc
	s_cbranch_execz .LBB17_31
.LBB17_37:                              ;   in Loop: Header=BB17_32 Depth=2
	v_add_co_u32_e32 v9, vcc, 64, v9
	v_addc_co_u32_e32 v10, vcc, 0, v10, vcc
	v_add_co_u32_e32 v19, vcc, 0x200, v19
	v_addc_co_u32_e32 v20, vcc, 0, v20, vcc
	v_cmp_ge_i64_e64 s[0:1], v[9:10], v[3:4]
	v_add_co_u32_e32 v21, vcc, 0x200, v21
	v_addc_co_u32_e32 v22, vcc, 0, v22, vcc
	s_orn2_b64 s[0:1], s[0:1], exec
	s_branch .LBB17_31
.LBB17_38:                              ;   in Loop: Header=BB17_19 Depth=1
	s_or_b64 exec, exec, s[6:7]
.LBB17_39:                              ;   in Loop: Header=BB17_19 Depth=1
	s_or_b64 exec, exec, s[4:5]
	s_waitcnt lgkmcnt(0)
	ds_read_u8 v14, v37
	s_waitcnt lgkmcnt(0)
	v_and_b32_e32 v15, 1, v14
	v_cmp_eq_u32_e64 s[0:1], 1, v15
	v_cmp_ne_u16_e32 vcc, 0, v14
	s_and_saveexec_b64 s[4:5], s[0:1]
	s_cbranch_execz .LBB17_18
; %bb.40:                               ;   in Loop: Header=BB17_19 Depth=1
	v_lshlrev_b64 v[14:15], 3, v[5:6]
	v_mov_b32_e32 v16, s11
	v_add_co_u32_e64 v19, s[0:1], s10, v14
	v_addc_co_u32_e64 v16, s[0:1], v16, v15, s[0:1]
	v_and_b32_e32 v15, vcc_lo, v11
	v_and_b32_e32 v14, vcc_hi, v12
	v_bcnt_u32_b32 v15, v15, 0
	v_bcnt_u32_b32 v14, v14, v15
	v_lshlrev_b32_e32 v20, 3, v14
	ds_read_b64 v[14:15], v35
	v_add_co_u32_e64 v19, s[0:1], v19, v20
	v_addc_co_u32_e64 v20, s[0:1], 0, v16, s[0:1]
	s_waitcnt lgkmcnt(0)
	global_store_dwordx2 v[19:20], v[14:15], off offset:-8
	s_branch .LBB17_18
.LBB17_41:
	s_endpgm
	.section	.rodata,"a",@progbits
	.p2align	6, 0x0
	.amdhsa_kernel _ZN9rocsparseL37csrgeam_fill_numeric_multipass_kernelILj256ELj64Ell21rocsparse_complex_numIfEEEvllNS_24const_host_device_scalarIT3_EEPKT1_PKT2_PKS4_S5_S8_SB_SD_S8_PS4_21rocsparse_index_base_SF_SF_bbb
		.amdhsa_group_segment_fixed_size 2304
		.amdhsa_private_segment_fixed_size 0
		.amdhsa_kernarg_size 112
		.amdhsa_user_sgpr_count 6
		.amdhsa_user_sgpr_private_segment_buffer 1
		.amdhsa_user_sgpr_dispatch_ptr 0
		.amdhsa_user_sgpr_queue_ptr 0
		.amdhsa_user_sgpr_kernarg_segment_ptr 1
		.amdhsa_user_sgpr_dispatch_id 0
		.amdhsa_user_sgpr_flat_scratch_init 0
		.amdhsa_user_sgpr_private_segment_size 0
		.amdhsa_uses_dynamic_stack 0
		.amdhsa_system_sgpr_private_segment_wavefront_offset 0
		.amdhsa_system_sgpr_workgroup_id_x 1
		.amdhsa_system_sgpr_workgroup_id_y 0
		.amdhsa_system_sgpr_workgroup_id_z 0
		.amdhsa_system_sgpr_workgroup_info 0
		.amdhsa_system_vgpr_workitem_id 0
		.amdhsa_next_free_vgpr 40
		.amdhsa_next_free_sgpr 40
		.amdhsa_reserve_vcc 1
		.amdhsa_reserve_flat_scratch 0
		.amdhsa_float_round_mode_32 0
		.amdhsa_float_round_mode_16_64 0
		.amdhsa_float_denorm_mode_32 3
		.amdhsa_float_denorm_mode_16_64 3
		.amdhsa_dx10_clamp 1
		.amdhsa_ieee_mode 1
		.amdhsa_fp16_overflow 0
		.amdhsa_exception_fp_ieee_invalid_op 0
		.amdhsa_exception_fp_denorm_src 0
		.amdhsa_exception_fp_ieee_div_zero 0
		.amdhsa_exception_fp_ieee_overflow 0
		.amdhsa_exception_fp_ieee_underflow 0
		.amdhsa_exception_fp_ieee_inexact 0
		.amdhsa_exception_int_div_zero 0
	.end_amdhsa_kernel
	.section	.text._ZN9rocsparseL37csrgeam_fill_numeric_multipass_kernelILj256ELj64Ell21rocsparse_complex_numIfEEEvllNS_24const_host_device_scalarIT3_EEPKT1_PKT2_PKS4_S5_S8_SB_SD_S8_PS4_21rocsparse_index_base_SF_SF_bbb,"axG",@progbits,_ZN9rocsparseL37csrgeam_fill_numeric_multipass_kernelILj256ELj64Ell21rocsparse_complex_numIfEEEvllNS_24const_host_device_scalarIT3_EEPKT1_PKT2_PKS4_S5_S8_SB_SD_S8_PS4_21rocsparse_index_base_SF_SF_bbb,comdat
.Lfunc_end17:
	.size	_ZN9rocsparseL37csrgeam_fill_numeric_multipass_kernelILj256ELj64Ell21rocsparse_complex_numIfEEEvllNS_24const_host_device_scalarIT3_EEPKT1_PKT2_PKS4_S5_S8_SB_SD_S8_PS4_21rocsparse_index_base_SF_SF_bbb, .Lfunc_end17-_ZN9rocsparseL37csrgeam_fill_numeric_multipass_kernelILj256ELj64Ell21rocsparse_complex_numIfEEEvllNS_24const_host_device_scalarIT3_EEPKT1_PKT2_PKS4_S5_S8_SB_SD_S8_PS4_21rocsparse_index_base_SF_SF_bbb
                                        ; -- End function
	.set _ZN9rocsparseL37csrgeam_fill_numeric_multipass_kernelILj256ELj64Ell21rocsparse_complex_numIfEEEvllNS_24const_host_device_scalarIT3_EEPKT1_PKT2_PKS4_S5_S8_SB_SD_S8_PS4_21rocsparse_index_base_SF_SF_bbb.num_vgpr, 40
	.set _ZN9rocsparseL37csrgeam_fill_numeric_multipass_kernelILj256ELj64Ell21rocsparse_complex_numIfEEEvllNS_24const_host_device_scalarIT3_EEPKT1_PKT2_PKS4_S5_S8_SB_SD_S8_PS4_21rocsparse_index_base_SF_SF_bbb.num_agpr, 0
	.set _ZN9rocsparseL37csrgeam_fill_numeric_multipass_kernelILj256ELj64Ell21rocsparse_complex_numIfEEEvllNS_24const_host_device_scalarIT3_EEPKT1_PKT2_PKS4_S5_S8_SB_SD_S8_PS4_21rocsparse_index_base_SF_SF_bbb.numbered_sgpr, 40
	.set _ZN9rocsparseL37csrgeam_fill_numeric_multipass_kernelILj256ELj64Ell21rocsparse_complex_numIfEEEvllNS_24const_host_device_scalarIT3_EEPKT1_PKT2_PKS4_S5_S8_SB_SD_S8_PS4_21rocsparse_index_base_SF_SF_bbb.num_named_barrier, 0
	.set _ZN9rocsparseL37csrgeam_fill_numeric_multipass_kernelILj256ELj64Ell21rocsparse_complex_numIfEEEvllNS_24const_host_device_scalarIT3_EEPKT1_PKT2_PKS4_S5_S8_SB_SD_S8_PS4_21rocsparse_index_base_SF_SF_bbb.private_seg_size, 0
	.set _ZN9rocsparseL37csrgeam_fill_numeric_multipass_kernelILj256ELj64Ell21rocsparse_complex_numIfEEEvllNS_24const_host_device_scalarIT3_EEPKT1_PKT2_PKS4_S5_S8_SB_SD_S8_PS4_21rocsparse_index_base_SF_SF_bbb.uses_vcc, 1
	.set _ZN9rocsparseL37csrgeam_fill_numeric_multipass_kernelILj256ELj64Ell21rocsparse_complex_numIfEEEvllNS_24const_host_device_scalarIT3_EEPKT1_PKT2_PKS4_S5_S8_SB_SD_S8_PS4_21rocsparse_index_base_SF_SF_bbb.uses_flat_scratch, 0
	.set _ZN9rocsparseL37csrgeam_fill_numeric_multipass_kernelILj256ELj64Ell21rocsparse_complex_numIfEEEvllNS_24const_host_device_scalarIT3_EEPKT1_PKT2_PKS4_S5_S8_SB_SD_S8_PS4_21rocsparse_index_base_SF_SF_bbb.has_dyn_sized_stack, 0
	.set _ZN9rocsparseL37csrgeam_fill_numeric_multipass_kernelILj256ELj64Ell21rocsparse_complex_numIfEEEvllNS_24const_host_device_scalarIT3_EEPKT1_PKT2_PKS4_S5_S8_SB_SD_S8_PS4_21rocsparse_index_base_SF_SF_bbb.has_recursion, 0
	.set _ZN9rocsparseL37csrgeam_fill_numeric_multipass_kernelILj256ELj64Ell21rocsparse_complex_numIfEEEvllNS_24const_host_device_scalarIT3_EEPKT1_PKT2_PKS4_S5_S8_SB_SD_S8_PS4_21rocsparse_index_base_SF_SF_bbb.has_indirect_call, 0
	.section	.AMDGPU.csdata,"",@progbits
; Kernel info:
; codeLenInByte = 1804
; TotalNumSgprs: 44
; NumVgprs: 40
; ScratchSize: 0
; MemoryBound: 0
; FloatMode: 240
; IeeeMode: 1
; LDSByteSize: 2304 bytes/workgroup (compile time only)
; SGPRBlocks: 5
; VGPRBlocks: 9
; NumSGPRsForWavesPerEU: 44
; NumVGPRsForWavesPerEU: 40
; Occupancy: 6
; WaveLimiterHint : 1
; COMPUTE_PGM_RSRC2:SCRATCH_EN: 0
; COMPUTE_PGM_RSRC2:USER_SGPR: 6
; COMPUTE_PGM_RSRC2:TRAP_HANDLER: 0
; COMPUTE_PGM_RSRC2:TGID_X_EN: 1
; COMPUTE_PGM_RSRC2:TGID_Y_EN: 0
; COMPUTE_PGM_RSRC2:TGID_Z_EN: 0
; COMPUTE_PGM_RSRC2:TIDIG_COMP_CNT: 0
	.section	.text._ZN9rocsparseL37csrgeam_fill_numeric_multipass_kernelILj256ELj32Eii21rocsparse_complex_numIdEEEvllNS_24const_host_device_scalarIT3_EEPKT1_PKT2_PKS4_S5_S8_SB_SD_S8_PS4_21rocsparse_index_base_SF_SF_bbb,"axG",@progbits,_ZN9rocsparseL37csrgeam_fill_numeric_multipass_kernelILj256ELj32Eii21rocsparse_complex_numIdEEEvllNS_24const_host_device_scalarIT3_EEPKT1_PKT2_PKS4_S5_S8_SB_SD_S8_PS4_21rocsparse_index_base_SF_SF_bbb,comdat
	.globl	_ZN9rocsparseL37csrgeam_fill_numeric_multipass_kernelILj256ELj32Eii21rocsparse_complex_numIdEEEvllNS_24const_host_device_scalarIT3_EEPKT1_PKT2_PKS4_S5_S8_SB_SD_S8_PS4_21rocsparse_index_base_SF_SF_bbb ; -- Begin function _ZN9rocsparseL37csrgeam_fill_numeric_multipass_kernelILj256ELj32Eii21rocsparse_complex_numIdEEEvllNS_24const_host_device_scalarIT3_EEPKT1_PKT2_PKS4_S5_S8_SB_SD_S8_PS4_21rocsparse_index_base_SF_SF_bbb
	.p2align	8
	.type	_ZN9rocsparseL37csrgeam_fill_numeric_multipass_kernelILj256ELj32Eii21rocsparse_complex_numIdEEEvllNS_24const_host_device_scalarIT3_EEPKT1_PKT2_PKS4_S5_S8_SB_SD_S8_PS4_21rocsparse_index_base_SF_SF_bbb,@function
_ZN9rocsparseL37csrgeam_fill_numeric_multipass_kernelILj256ELj32Eii21rocsparse_complex_numIdEEEvllNS_24const_host_device_scalarIT3_EEPKT1_PKT2_PKS4_S5_S8_SB_SD_S8_PS4_21rocsparse_index_base_SF_SF_bbb: ; @_ZN9rocsparseL37csrgeam_fill_numeric_multipass_kernelILj256ELj32Eii21rocsparse_complex_numIdEEEvllNS_24const_host_device_scalarIT3_EEPKT1_PKT2_PKS4_S5_S8_SB_SD_S8_PS4_21rocsparse_index_base_SF_SF_bbb
; %bb.0:
	s_add_u32 flat_scratch_lo, s6, s9
	s_addc_u32 flat_scratch_hi, s7, 0
	s_add_u32 s0, s0, s9
	s_load_dword s9, s[4:5], 0x7c
	s_load_dwordx8 s[12:19], s[4:5], 0x0
	s_load_dwordx4 s[24:27], s[4:5], 0x38
	s_load_dwordx4 s[20:23], s[4:5], 0x70
	s_addc_u32 s1, s1, 0
	s_waitcnt lgkmcnt(0)
	s_bitcmp1_b32 s9, 16
	v_mov_b32_e32 v1, s17
	buffer_store_dword v1, off, s[0:3], 0 offset:4
	v_mov_b32_e32 v1, s16
	s_cselect_b64 s[10:11], -1, 0
	buffer_store_dword v1, off, s[0:3], 0
	v_mov_b32_e32 v1, s25
	s_xor_b64 s[6:7], s[10:11], -1
	buffer_store_dword v1, off, s[0:3], 0 offset:12
	v_mov_b32_e32 v1, s24
	buffer_store_dword v1, off, s[0:3], 0 offset:8
	v_mov_b32_e32 v6, 0
	v_cndmask_b32_e64 v1, 0, 1, s[6:7]
	v_mov_b32_e32 v4, 0
	v_mov_b32_e32 v8, 0
	;; [unrolled: 1-line block ×3, first 2 shown]
	s_bitcmp0_b32 s23, 0
	v_mov_b32_e32 v5, 0
	v_mov_b32_e32 v9, 0
	v_cmp_ne_u32_e64 s[6:7], 1, v1
	s_cbranch_scc1 .LBB18_3
; %bb.1:
	s_mov_b64 s[28:29], src_private_base
	s_and_b64 s[30:31], s[10:11], exec
	s_cselect_b32 s23, s29, s17
	s_cselect_b32 s28, 0, s16
	v_mov_b32_e32 v1, s28
	v_mov_b32_e32 v2, s23
	flat_load_dwordx2 v[4:5], v[1:2]
	v_mov_b32_e32 v8, s18
	s_and_b64 vcc, exec, s[6:7]
	v_mov_b32_e32 v9, s19
	s_cbranch_vccnz .LBB18_3
; %bb.2:
	v_mov_b32_e32 v1, s16
	v_mov_b32_e32 v2, s17
	flat_load_dwordx2 v[8:9], v[1:2] offset:8
.LBB18_3:
	s_bfe_u32 s9, s9, 0x10008
	v_mov_b32_e32 v10, 0
	s_cmp_eq_u32 s9, 0
	v_mov_b32_e32 v11, 0
	s_cbranch_scc1 .LBB18_6
; %bb.4:
	s_mov_b64 s[16:17], src_private_base
	s_and_b64 s[10:11], s[10:11], exec
	s_cselect_b32 s9, s17, s25
	s_cselect_b32 s10, 8, s24
	v_mov_b32_e32 v1, s10
	v_mov_b32_e32 v2, s9
	flat_load_dwordx2 v[10:11], v[1:2]
	v_mov_b32_e32 v6, s26
	s_and_b64 vcc, exec, s[6:7]
	v_mov_b32_e32 v7, s27
	s_cbranch_vccnz .LBB18_6
; %bb.5:
	v_mov_b32_e32 v1, s24
	v_mov_b32_e32 v2, s25
	flat_load_dwordx2 v[6:7], v[1:2] offset:8
.LBB18_6:
	s_lshl_b32 s6, s8, 3
	v_lshrrev_b32_e32 v1, 5, v0
	s_and_b32 s6, s6, 0x7fffff8
	v_or_b32_e32 v1, s6, v1
	v_mov_b32_e32 v2, 0
	v_cmp_gt_i64_e32 vcc, s[12:13], v[1:2]
	s_and_saveexec_b64 s[6:7], vcc
	s_cbranch_execz .LBB18_37
; %bb.7:
	s_load_dwordx4 s[8:11], s[4:5], 0x20
	s_load_dwordx2 s[6:7], s[4:5], 0x48
	s_load_dwordx2 s[12:13], s[4:5], 0x60
	v_lshlrev_b32_e32 v14, 2, v1
	s_waitcnt lgkmcnt(0)
	global_load_dwordx2 v[12:13], v14, s[8:9]
	global_load_dwordx2 v[1:2], v14, s[6:7]
	global_load_dword v3, v14, s[12:13]
	s_waitcnt vmcnt(0)
	v_cmp_ge_i32_e32 vcc, v12, v13
	s_and_saveexec_b64 s[6:7], vcc
	s_xor_b64 s[6:7], exec, s[6:7]
	s_or_saveexec_b64 s[6:7], s[6:7]
	v_subrev_u32_e32 v14, s20, v12
	v_mov_b32_e32 v12, s14
	s_xor_b64 exec, exec, s[6:7]
	s_cbranch_execz .LBB18_9
; %bb.8:
	v_ashrrev_i32_e32 v15, 31, v14
	v_lshlrev_b64 v[15:16], 2, v[14:15]
	v_mov_b32_e32 v12, s11
	v_add_co_u32_e32 v15, vcc, s10, v15
	v_addc_co_u32_e32 v16, vcc, v12, v16, vcc
	global_load_dword v12, v[15:16], off
	s_waitcnt vmcnt(0)
	v_subrev_u32_e32 v12, s20, v12
.LBB18_9:
	s_or_b64 exec, exec, s[6:7]
	s_load_dwordx2 s[6:7], s[4:5], 0x50
	v_cmp_ge_i32_e32 vcc, v1, v2
	v_mov_b32_e32 v19, s14
	s_and_saveexec_b64 s[8:9], vcc
	s_xor_b64 s[8:9], exec, s[8:9]
; %bb.10:
	v_mov_b32_e32 v19, s14
; %bb.11:
	s_or_saveexec_b64 s[18:19], s[8:9]
	s_load_dwordx2 s[8:9], s[4:5], 0x68
	s_load_dwordx2 s[12:13], s[4:5], 0x58
	;; [unrolled: 1-line block ×3, first 2 shown]
	v_subrev_u32_e32 v15, s21, v1
	v_mov_b32_e32 v1, v19
	s_xor_b64 exec, exec, s[18:19]
	s_cbranch_execz .LBB18_13
; %bb.12:
	v_ashrrev_i32_e32 v16, 31, v15
	v_lshlrev_b64 v[16:17], 2, v[15:16]
	s_waitcnt lgkmcnt(0)
	v_mov_b32_e32 v1, s7
	v_add_co_u32_e32 v16, vcc, s6, v16
	v_addc_co_u32_e32 v17, vcc, v1, v17, vcc
	global_load_dword v1, v[16:17], off
	s_waitcnt vmcnt(0)
	v_subrev_u32_e32 v1, s21, v1
.LBB18_13:
	s_or_b64 exec, exec, s[18:19]
	v_min_i32_e32 v17, v1, v12
	v_mbcnt_lo_u32_b32 v1, -1, 0
	v_mbcnt_hi_u32_b32 v1, -1, v1
	v_subrev_u32_e32 v23, s21, v2
	v_and_b32_e32 v2, 64, v1
	v_subrev_u32_e32 v24, s22, v3
	v_add_u32_e32 v2, 64, v2
	v_xor_b32_e32 v3, 16, v1
	v_and_b32_e32 v16, 0xe0, v0
	v_subrev_u32_e32 v22, s20, v13
	v_and_b32_e32 v0, 31, v0
	v_xor_b32_e32 v13, 8, v1
	v_cmp_lt_i32_e32 vcc, v3, v2
	v_add_u32_e32 v12, v14, v0
	v_add_u32_e32 v14, v15, v0
	v_xor_b32_e32 v15, 4, v1
	v_cndmask_b32_e32 v3, v1, v3, vcc
	v_cmp_lt_i32_e32 vcc, v13, v2
	v_or_b32_e32 v20, 0x1000, v16
	v_lshlrev_b32_e32 v21, 4, v16
	v_xor_b32_e32 v16, 2, v1
	v_lshlrev_b32_e32 v27, 2, v3
	v_cndmask_b32_e32 v3, v1, v13, vcc
	v_cmp_lt_i32_e32 vcc, v15, v2
	v_xor_b32_e32 v18, 1, v1
	v_lshlrev_b32_e32 v28, 2, v3
	v_cndmask_b32_e32 v3, v1, v15, vcc
	v_cmp_lt_i32_e32 vcc, v16, v2
	v_lshlrev_b32_e32 v29, 2, v3
	v_cndmask_b32_e32 v3, v1, v16, vcc
	v_cmp_lt_i32_e32 vcc, v18, v2
	v_xor_b32_e32 v26, 31, v0
	v_cndmask_b32_e32 v1, v1, v18, vcc
	v_mov_b32_e32 v16, 0
	v_lshl_or_b32 v25, v0, 4, v21
	v_lshrrev_b32_e64 v26, v26, -1
	v_lshlrev_b32_e32 v30, 2, v3
	v_lshlrev_b32_e32 v31, 2, v1
	s_mov_b64 s[18:19], 0
	v_add_u32_e32 v32, v20, v0
	v_mov_b32_e32 v0, v16
	v_mov_b32_e32 v1, v16
	;; [unrolled: 1-line block ×5, first 2 shown]
	s_branch .LBB18_15
.LBB18_14:                              ;   in Loop: Header=BB18_15 Depth=1
	s_or_b64 exec, exec, s[22:23]
	ds_bpermute_b32 v13, v27, v18
	s_bcnt1_i32_b64 s22, vcc
	v_add_u32_e32 v24, s22, v24
	s_waitcnt lgkmcnt(0)
	v_min_i32_e32 v13, v13, v18
	ds_bpermute_b32 v15, v28, v13
	s_waitcnt lgkmcnt(0)
	v_min_i32_e32 v13, v15, v13
	ds_bpermute_b32 v15, v29, v13
	s_waitcnt lgkmcnt(0)
	v_min_i32_e32 v13, v15, v13
	ds_bpermute_b32 v15, v30, v13
	s_waitcnt lgkmcnt(0)
	v_min_i32_e32 v13, v15, v13
	ds_bpermute_b32 v15, v31, v13
	s_waitcnt lgkmcnt(0)
	v_min_i32_e32 v17, v15, v13
	v_ashrrev_i32_e32 v18, 31, v17
	v_cmp_le_i64_e64 s[4:5], s[14:15], v[17:18]
	s_or_b64 s[18:19], s[4:5], s[18:19]
	s_andn2_b64 exec, exec, s[18:19]
	s_cbranch_execz .LBB18_37
.LBB18_15:                              ; =>This Loop Header: Depth=1
                                        ;     Child Loop BB18_18 Depth 2
                                        ;     Child Loop BB18_28 Depth 2
	v_cmp_lt_i32_e32 vcc, v12, v22
	v_mov_b32_e32 v18, v19
	ds_write_b8 v32, v16
	ds_write_b128 v25, v[0:3]
	s_waitcnt lgkmcnt(0)
	s_and_saveexec_b64 s[22:23], vcc
	s_cbranch_execz .LBB18_25
; %bb.16:                               ;   in Loop: Header=BB18_15 Depth=1
	s_mov_b64 s[24:25], 0
	v_mov_b32_e32 v18, v19
	s_branch .LBB18_18
.LBB18_17:                              ;   in Loop: Header=BB18_18 Depth=2
	s_or_b64 exec, exec, s[26:27]
	s_and_b64 s[4:5], exec, s[4:5]
	s_or_b64 s[24:25], s[4:5], s[24:25]
	s_andn2_b64 exec, exec, s[24:25]
	s_cbranch_execz .LBB18_24
.LBB18_18:                              ;   Parent Loop BB18_15 Depth=1
                                        ; =>  This Inner Loop Header: Depth=2
	v_ashrrev_i32_e32 v13, 31, v12
	v_lshlrev_b64 v[34:35], 2, v[12:13]
	v_mov_b32_e32 v15, s11
	v_add_co_u32_e32 v34, vcc, s10, v34
	v_addc_co_u32_e32 v35, vcc, v15, v35, vcc
	global_load_dword v15, v[34:35], off
	s_waitcnt vmcnt(0)
	v_subrev_u32_e32 v34, s20, v15
	v_sub_u32_e32 v15, v34, v17
	v_cmp_gt_u32_e32 vcc, 32, v15
	v_cmp_lt_u32_e64 s[4:5], 31, v15
	s_and_saveexec_b64 s[26:27], s[4:5]
	s_xor_b64 s[4:5], exec, s[26:27]
	s_cbranch_execnz .LBB18_21
; %bb.19:                               ;   in Loop: Header=BB18_18 Depth=2
	s_andn2_saveexec_b64 s[26:27], s[4:5]
	s_cbranch_execnz .LBB18_22
.LBB18_20:                              ;   in Loop: Header=BB18_18 Depth=2
	s_or_b64 exec, exec, s[26:27]
	s_mov_b64 s[4:5], -1
	s_and_saveexec_b64 s[26:27], vcc
	s_cbranch_execz .LBB18_17
	s_branch .LBB18_23
.LBB18_21:                              ;   in Loop: Header=BB18_18 Depth=2
	v_min_i32_e32 v18, v34, v18
                                        ; implicit-def: $vgpr15
	s_andn2_saveexec_b64 s[26:27], s[4:5]
	s_cbranch_execz .LBB18_20
.LBB18_22:                              ;   in Loop: Header=BB18_18 Depth=2
	v_lshlrev_b64 v[34:35], 4, v[12:13]
	v_mov_b32_e32 v13, s17
	v_add_co_u32_e64 v34, s[4:5], s16, v34
	v_addc_co_u32_e64 v35, s[4:5], v13, v35, s[4:5]
	global_load_dwordx4 v[34:37], v[34:35], off
	v_add_u32_e32 v13, v20, v15
	ds_write_b8 v13, v33
	v_lshl_add_u32 v13, v15, 4, v21
	s_waitcnt vmcnt(0)
	v_mul_f64 v[38:39], v[36:37], -v[8:9]
	v_mul_f64 v[40:41], v[4:5], v[36:37]
	v_fma_f64 v[36:37], v[4:5], v[34:35], v[38:39]
	v_fma_f64 v[38:39], v[8:9], v[34:35], v[40:41]
	ds_write_b128 v13, v[36:39]
	s_or_b64 exec, exec, s[26:27]
	s_mov_b64 s[4:5], -1
	s_and_saveexec_b64 s[26:27], vcc
	s_cbranch_execz .LBB18_17
.LBB18_23:                              ;   in Loop: Header=BB18_18 Depth=2
	v_add_u32_e32 v12, 32, v12
	v_cmp_ge_i32_e32 vcc, v12, v22
	s_orn2_b64 s[4:5], vcc, exec
	s_branch .LBB18_17
.LBB18_24:                              ;   in Loop: Header=BB18_15 Depth=1
	s_or_b64 exec, exec, s[24:25]
.LBB18_25:                              ;   in Loop: Header=BB18_15 Depth=1
	s_or_b64 exec, exec, s[22:23]
	v_cmp_lt_i32_e32 vcc, v14, v23
	s_waitcnt lgkmcnt(0)
	s_and_saveexec_b64 s[22:23], vcc
	s_cbranch_execz .LBB18_35
; %bb.26:                               ;   in Loop: Header=BB18_15 Depth=1
	s_mov_b64 s[24:25], 0
	s_branch .LBB18_28
.LBB18_27:                              ;   in Loop: Header=BB18_28 Depth=2
	s_or_b64 exec, exec, s[26:27]
	s_and_b64 s[4:5], exec, s[4:5]
	s_or_b64 s[24:25], s[4:5], s[24:25]
	s_andn2_b64 exec, exec, s[24:25]
	s_cbranch_execz .LBB18_34
.LBB18_28:                              ;   Parent Loop BB18_15 Depth=1
                                        ; =>  This Inner Loop Header: Depth=2
	v_ashrrev_i32_e32 v15, 31, v14
	v_lshlrev_b64 v[34:35], 2, v[14:15]
	v_mov_b32_e32 v13, s7
	v_add_co_u32_e32 v34, vcc, s6, v34
	v_addc_co_u32_e32 v35, vcc, v13, v35, vcc
	global_load_dword v13, v[34:35], off
	s_waitcnt vmcnt(0)
	v_subrev_u32_e32 v34, s21, v13
	v_sub_u32_e32 v13, v34, v17
	v_cmp_gt_u32_e32 vcc, 32, v13
	v_cmp_lt_u32_e64 s[4:5], 31, v13
	s_and_saveexec_b64 s[26:27], s[4:5]
	s_xor_b64 s[4:5], exec, s[26:27]
	s_cbranch_execnz .LBB18_31
; %bb.29:                               ;   in Loop: Header=BB18_28 Depth=2
	s_andn2_saveexec_b64 s[26:27], s[4:5]
	s_cbranch_execnz .LBB18_32
.LBB18_30:                              ;   in Loop: Header=BB18_28 Depth=2
	s_or_b64 exec, exec, s[26:27]
	s_mov_b64 s[4:5], -1
	s_and_saveexec_b64 s[26:27], vcc
	s_cbranch_execz .LBB18_27
	s_branch .LBB18_33
.LBB18_31:                              ;   in Loop: Header=BB18_28 Depth=2
	v_min_i32_e32 v18, v34, v18
                                        ; implicit-def: $vgpr13
	s_andn2_saveexec_b64 s[26:27], s[4:5]
	s_cbranch_execz .LBB18_30
.LBB18_32:                              ;   in Loop: Header=BB18_28 Depth=2
	v_lshlrev_b64 v[34:35], 4, v[14:15]
	v_mov_b32_e32 v15, s13
	v_add_co_u32_e64 v34, s[4:5], s12, v34
	v_addc_co_u32_e64 v35, s[4:5], v15, v35, s[4:5]
	global_load_dwordx4 v[34:37], v[34:35], off
	v_lshl_add_u32 v15, v13, 4, v21
	ds_read_b128 v[38:41], v15
	v_add_u32_e32 v13, v20, v13
	s_waitcnt vmcnt(0) lgkmcnt(0)
	v_fma_f64 v[38:39], v[10:11], v[34:35], v[38:39]
	v_fma_f64 v[40:41], v[6:7], v[34:35], v[40:41]
	v_fma_f64 v[34:35], -v[6:7], v[36:37], v[38:39]
	v_fma_f64 v[36:37], v[10:11], v[36:37], v[40:41]
	ds_write_b8 v13, v33
	ds_write_b128 v15, v[34:37]
	s_or_b64 exec, exec, s[26:27]
	s_mov_b64 s[4:5], -1
	s_and_saveexec_b64 s[26:27], vcc
	s_cbranch_execz .LBB18_27
.LBB18_33:                              ;   in Loop: Header=BB18_28 Depth=2
	v_add_u32_e32 v14, 32, v14
	v_cmp_ge_i32_e32 vcc, v14, v23
	s_orn2_b64 s[4:5], vcc, exec
	s_branch .LBB18_27
.LBB18_34:                              ;   in Loop: Header=BB18_15 Depth=1
	s_or_b64 exec, exec, s[24:25]
.LBB18_35:                              ;   in Loop: Header=BB18_15 Depth=1
	s_or_b64 exec, exec, s[22:23]
	s_waitcnt lgkmcnt(0)
	ds_read_u8 v13, v32
	s_waitcnt lgkmcnt(0)
	v_and_b32_e32 v15, 1, v13
	v_cmp_eq_u32_e64 s[4:5], 1, v15
	v_cmp_ne_u16_e32 vcc, 0, v13
	s_and_saveexec_b64 s[22:23], s[4:5]
	s_cbranch_execz .LBB18_14
; %bb.36:                               ;   in Loop: Header=BB18_15 Depth=1
	v_and_b32_e32 v13, vcc_lo, v26
	v_bcnt_u32_b32 v13, v13, 0
	v_add3_u32 v15, v24, v13, -1
	ds_read2_b64 v[34:37], v25 offset1:1
	v_lshlrev_b64 v[38:39], 4, v[15:16]
	v_mov_b32_e32 v13, s9
	v_add_co_u32_e64 v38, s[4:5], s8, v38
	v_addc_co_u32_e64 v39, s[4:5], v13, v39, s[4:5]
	s_waitcnt lgkmcnt(0)
	global_store_dwordx4 v[38:39], v[34:37], off
	s_branch .LBB18_14
.LBB18_37:
	s_endpgm
	.section	.rodata,"a",@progbits
	.p2align	6, 0x0
	.amdhsa_kernel _ZN9rocsparseL37csrgeam_fill_numeric_multipass_kernelILj256ELj32Eii21rocsparse_complex_numIdEEEvllNS_24const_host_device_scalarIT3_EEPKT1_PKT2_PKS4_S5_S8_SB_SD_S8_PS4_21rocsparse_index_base_SF_SF_bbb
		.amdhsa_group_segment_fixed_size 4352
		.amdhsa_private_segment_fixed_size 24
		.amdhsa_kernarg_size 128
		.amdhsa_user_sgpr_count 8
		.amdhsa_user_sgpr_private_segment_buffer 1
		.amdhsa_user_sgpr_dispatch_ptr 0
		.amdhsa_user_sgpr_queue_ptr 0
		.amdhsa_user_sgpr_kernarg_segment_ptr 1
		.amdhsa_user_sgpr_dispatch_id 0
		.amdhsa_user_sgpr_flat_scratch_init 1
		.amdhsa_user_sgpr_private_segment_size 0
		.amdhsa_uses_dynamic_stack 0
		.amdhsa_system_sgpr_private_segment_wavefront_offset 1
		.amdhsa_system_sgpr_workgroup_id_x 1
		.amdhsa_system_sgpr_workgroup_id_y 0
		.amdhsa_system_sgpr_workgroup_id_z 0
		.amdhsa_system_sgpr_workgroup_info 0
		.amdhsa_system_vgpr_workitem_id 0
		.amdhsa_next_free_vgpr 42
		.amdhsa_next_free_sgpr 32
		.amdhsa_reserve_vcc 1
		.amdhsa_reserve_flat_scratch 1
		.amdhsa_float_round_mode_32 0
		.amdhsa_float_round_mode_16_64 0
		.amdhsa_float_denorm_mode_32 3
		.amdhsa_float_denorm_mode_16_64 3
		.amdhsa_dx10_clamp 1
		.amdhsa_ieee_mode 1
		.amdhsa_fp16_overflow 0
		.amdhsa_exception_fp_ieee_invalid_op 0
		.amdhsa_exception_fp_denorm_src 0
		.amdhsa_exception_fp_ieee_div_zero 0
		.amdhsa_exception_fp_ieee_overflow 0
		.amdhsa_exception_fp_ieee_underflow 0
		.amdhsa_exception_fp_ieee_inexact 0
		.amdhsa_exception_int_div_zero 0
	.end_amdhsa_kernel
	.section	.text._ZN9rocsparseL37csrgeam_fill_numeric_multipass_kernelILj256ELj32Eii21rocsparse_complex_numIdEEEvllNS_24const_host_device_scalarIT3_EEPKT1_PKT2_PKS4_S5_S8_SB_SD_S8_PS4_21rocsparse_index_base_SF_SF_bbb,"axG",@progbits,_ZN9rocsparseL37csrgeam_fill_numeric_multipass_kernelILj256ELj32Eii21rocsparse_complex_numIdEEEvllNS_24const_host_device_scalarIT3_EEPKT1_PKT2_PKS4_S5_S8_SB_SD_S8_PS4_21rocsparse_index_base_SF_SF_bbb,comdat
.Lfunc_end18:
	.size	_ZN9rocsparseL37csrgeam_fill_numeric_multipass_kernelILj256ELj32Eii21rocsparse_complex_numIdEEEvllNS_24const_host_device_scalarIT3_EEPKT1_PKT2_PKS4_S5_S8_SB_SD_S8_PS4_21rocsparse_index_base_SF_SF_bbb, .Lfunc_end18-_ZN9rocsparseL37csrgeam_fill_numeric_multipass_kernelILj256ELj32Eii21rocsparse_complex_numIdEEEvllNS_24const_host_device_scalarIT3_EEPKT1_PKT2_PKS4_S5_S8_SB_SD_S8_PS4_21rocsparse_index_base_SF_SF_bbb
                                        ; -- End function
	.set _ZN9rocsparseL37csrgeam_fill_numeric_multipass_kernelILj256ELj32Eii21rocsparse_complex_numIdEEEvllNS_24const_host_device_scalarIT3_EEPKT1_PKT2_PKS4_S5_S8_SB_SD_S8_PS4_21rocsparse_index_base_SF_SF_bbb.num_vgpr, 42
	.set _ZN9rocsparseL37csrgeam_fill_numeric_multipass_kernelILj256ELj32Eii21rocsparse_complex_numIdEEEvllNS_24const_host_device_scalarIT3_EEPKT1_PKT2_PKS4_S5_S8_SB_SD_S8_PS4_21rocsparse_index_base_SF_SF_bbb.num_agpr, 0
	.set _ZN9rocsparseL37csrgeam_fill_numeric_multipass_kernelILj256ELj32Eii21rocsparse_complex_numIdEEEvllNS_24const_host_device_scalarIT3_EEPKT1_PKT2_PKS4_S5_S8_SB_SD_S8_PS4_21rocsparse_index_base_SF_SF_bbb.numbered_sgpr, 32
	.set _ZN9rocsparseL37csrgeam_fill_numeric_multipass_kernelILj256ELj32Eii21rocsparse_complex_numIdEEEvllNS_24const_host_device_scalarIT3_EEPKT1_PKT2_PKS4_S5_S8_SB_SD_S8_PS4_21rocsparse_index_base_SF_SF_bbb.num_named_barrier, 0
	.set _ZN9rocsparseL37csrgeam_fill_numeric_multipass_kernelILj256ELj32Eii21rocsparse_complex_numIdEEEvllNS_24const_host_device_scalarIT3_EEPKT1_PKT2_PKS4_S5_S8_SB_SD_S8_PS4_21rocsparse_index_base_SF_SF_bbb.private_seg_size, 24
	.set _ZN9rocsparseL37csrgeam_fill_numeric_multipass_kernelILj256ELj32Eii21rocsparse_complex_numIdEEEvllNS_24const_host_device_scalarIT3_EEPKT1_PKT2_PKS4_S5_S8_SB_SD_S8_PS4_21rocsparse_index_base_SF_SF_bbb.uses_vcc, 1
	.set _ZN9rocsparseL37csrgeam_fill_numeric_multipass_kernelILj256ELj32Eii21rocsparse_complex_numIdEEEvllNS_24const_host_device_scalarIT3_EEPKT1_PKT2_PKS4_S5_S8_SB_SD_S8_PS4_21rocsparse_index_base_SF_SF_bbb.uses_flat_scratch, 1
	.set _ZN9rocsparseL37csrgeam_fill_numeric_multipass_kernelILj256ELj32Eii21rocsparse_complex_numIdEEEvllNS_24const_host_device_scalarIT3_EEPKT1_PKT2_PKS4_S5_S8_SB_SD_S8_PS4_21rocsparse_index_base_SF_SF_bbb.has_dyn_sized_stack, 0
	.set _ZN9rocsparseL37csrgeam_fill_numeric_multipass_kernelILj256ELj32Eii21rocsparse_complex_numIdEEEvllNS_24const_host_device_scalarIT3_EEPKT1_PKT2_PKS4_S5_S8_SB_SD_S8_PS4_21rocsparse_index_base_SF_SF_bbb.has_recursion, 0
	.set _ZN9rocsparseL37csrgeam_fill_numeric_multipass_kernelILj256ELj32Eii21rocsparse_complex_numIdEEEvllNS_24const_host_device_scalarIT3_EEPKT1_PKT2_PKS4_S5_S8_SB_SD_S8_PS4_21rocsparse_index_base_SF_SF_bbb.has_indirect_call, 0
	.section	.AMDGPU.csdata,"",@progbits
; Kernel info:
; codeLenInByte = 1660
; TotalNumSgprs: 38
; NumVgprs: 42
; ScratchSize: 24
; MemoryBound: 0
; FloatMode: 240
; IeeeMode: 1
; LDSByteSize: 4352 bytes/workgroup (compile time only)
; SGPRBlocks: 4
; VGPRBlocks: 10
; NumSGPRsForWavesPerEU: 38
; NumVGPRsForWavesPerEU: 42
; Occupancy: 5
; WaveLimiterHint : 1
; COMPUTE_PGM_RSRC2:SCRATCH_EN: 1
; COMPUTE_PGM_RSRC2:USER_SGPR: 8
; COMPUTE_PGM_RSRC2:TRAP_HANDLER: 0
; COMPUTE_PGM_RSRC2:TGID_X_EN: 1
; COMPUTE_PGM_RSRC2:TGID_Y_EN: 0
; COMPUTE_PGM_RSRC2:TGID_Z_EN: 0
; COMPUTE_PGM_RSRC2:TIDIG_COMP_CNT: 0
	.section	.text._ZN9rocsparseL37csrgeam_fill_numeric_multipass_kernelILj256ELj64Eii21rocsparse_complex_numIdEEEvllNS_24const_host_device_scalarIT3_EEPKT1_PKT2_PKS4_S5_S8_SB_SD_S8_PS4_21rocsparse_index_base_SF_SF_bbb,"axG",@progbits,_ZN9rocsparseL37csrgeam_fill_numeric_multipass_kernelILj256ELj64Eii21rocsparse_complex_numIdEEEvllNS_24const_host_device_scalarIT3_EEPKT1_PKT2_PKS4_S5_S8_SB_SD_S8_PS4_21rocsparse_index_base_SF_SF_bbb,comdat
	.globl	_ZN9rocsparseL37csrgeam_fill_numeric_multipass_kernelILj256ELj64Eii21rocsparse_complex_numIdEEEvllNS_24const_host_device_scalarIT3_EEPKT1_PKT2_PKS4_S5_S8_SB_SD_S8_PS4_21rocsparse_index_base_SF_SF_bbb ; -- Begin function _ZN9rocsparseL37csrgeam_fill_numeric_multipass_kernelILj256ELj64Eii21rocsparse_complex_numIdEEEvllNS_24const_host_device_scalarIT3_EEPKT1_PKT2_PKS4_S5_S8_SB_SD_S8_PS4_21rocsparse_index_base_SF_SF_bbb
	.p2align	8
	.type	_ZN9rocsparseL37csrgeam_fill_numeric_multipass_kernelILj256ELj64Eii21rocsparse_complex_numIdEEEvllNS_24const_host_device_scalarIT3_EEPKT1_PKT2_PKS4_S5_S8_SB_SD_S8_PS4_21rocsparse_index_base_SF_SF_bbb,@function
_ZN9rocsparseL37csrgeam_fill_numeric_multipass_kernelILj256ELj64Eii21rocsparse_complex_numIdEEEvllNS_24const_host_device_scalarIT3_EEPKT1_PKT2_PKS4_S5_S8_SB_SD_S8_PS4_21rocsparse_index_base_SF_SF_bbb: ; @_ZN9rocsparseL37csrgeam_fill_numeric_multipass_kernelILj256ELj64Eii21rocsparse_complex_numIdEEEvllNS_24const_host_device_scalarIT3_EEPKT1_PKT2_PKS4_S5_S8_SB_SD_S8_PS4_21rocsparse_index_base_SF_SF_bbb
; %bb.0:
	s_add_u32 flat_scratch_lo, s6, s9
	s_addc_u32 flat_scratch_hi, s7, 0
	s_add_u32 s0, s0, s9
	s_load_dword s9, s[4:5], 0x7c
	s_load_dwordx8 s[12:19], s[4:5], 0x0
	s_load_dwordx4 s[24:27], s[4:5], 0x38
	s_load_dwordx4 s[20:23], s[4:5], 0x70
	s_addc_u32 s1, s1, 0
	s_waitcnt lgkmcnt(0)
	s_bitcmp1_b32 s9, 16
	v_mov_b32_e32 v1, s17
	buffer_store_dword v1, off, s[0:3], 0 offset:4
	v_mov_b32_e32 v1, s16
	s_cselect_b64 s[10:11], -1, 0
	buffer_store_dword v1, off, s[0:3], 0
	v_mov_b32_e32 v1, s25
	s_xor_b64 s[6:7], s[10:11], -1
	buffer_store_dword v1, off, s[0:3], 0 offset:12
	v_mov_b32_e32 v1, s24
	buffer_store_dword v1, off, s[0:3], 0 offset:8
	v_mov_b32_e32 v6, 0
	v_cndmask_b32_e64 v1, 0, 1, s[6:7]
	v_mov_b32_e32 v4, 0
	v_mov_b32_e32 v8, 0
	v_mov_b32_e32 v7, 0
	s_bitcmp0_b32 s23, 0
	v_mov_b32_e32 v5, 0
	v_mov_b32_e32 v9, 0
	v_cmp_ne_u32_e64 s[6:7], 1, v1
	s_cbranch_scc1 .LBB19_3
; %bb.1:
	s_mov_b64 s[28:29], src_private_base
	s_and_b64 s[30:31], s[10:11], exec
	s_cselect_b32 s23, s29, s17
	s_cselect_b32 s28, 0, s16
	v_mov_b32_e32 v1, s28
	v_mov_b32_e32 v2, s23
	flat_load_dwordx2 v[4:5], v[1:2]
	v_mov_b32_e32 v8, s18
	s_and_b64 vcc, exec, s[6:7]
	v_mov_b32_e32 v9, s19
	s_cbranch_vccnz .LBB19_3
; %bb.2:
	v_mov_b32_e32 v1, s16
	v_mov_b32_e32 v2, s17
	flat_load_dwordx2 v[8:9], v[1:2] offset:8
.LBB19_3:
	s_bfe_u32 s9, s9, 0x10008
	v_mov_b32_e32 v10, 0
	s_cmp_eq_u32 s9, 0
	v_mov_b32_e32 v11, 0
	s_cbranch_scc1 .LBB19_6
; %bb.4:
	s_mov_b64 s[16:17], src_private_base
	s_and_b64 s[10:11], s[10:11], exec
	s_cselect_b32 s9, s17, s25
	s_cselect_b32 s10, 8, s24
	v_mov_b32_e32 v1, s10
	v_mov_b32_e32 v2, s9
	flat_load_dwordx2 v[10:11], v[1:2]
	v_mov_b32_e32 v6, s26
	s_and_b64 vcc, exec, s[6:7]
	v_mov_b32_e32 v7, s27
	s_cbranch_vccnz .LBB19_6
; %bb.5:
	v_mov_b32_e32 v1, s24
	v_mov_b32_e32 v2, s25
	flat_load_dwordx2 v[6:7], v[1:2] offset:8
.LBB19_6:
	s_lshl_b32 s6, s8, 2
	v_lshrrev_b32_e32 v1, 6, v0
	s_and_b32 s6, s6, 0x3fffffc
	v_or_b32_e32 v1, s6, v1
	v_mov_b32_e32 v2, 0
	v_cmp_gt_i64_e32 vcc, s[12:13], v[1:2]
	s_and_saveexec_b64 s[6:7], vcc
	s_cbranch_execz .LBB19_37
; %bb.7:
	s_load_dwordx4 s[8:11], s[4:5], 0x20
	s_load_dwordx2 s[6:7], s[4:5], 0x48
	s_load_dwordx2 s[12:13], s[4:5], 0x60
	v_lshlrev_b32_e32 v14, 2, v1
	s_waitcnt lgkmcnt(0)
	global_load_dwordx2 v[12:13], v14, s[8:9]
	global_load_dwordx2 v[1:2], v14, s[6:7]
	global_load_dword v3, v14, s[12:13]
	s_waitcnt vmcnt(0)
	v_cmp_ge_i32_e32 vcc, v12, v13
	s_and_saveexec_b64 s[6:7], vcc
	s_xor_b64 s[6:7], exec, s[6:7]
	s_or_saveexec_b64 s[6:7], s[6:7]
	v_subrev_u32_e32 v14, s20, v12
	v_mov_b32_e32 v12, s14
	s_xor_b64 exec, exec, s[6:7]
	s_cbranch_execz .LBB19_9
; %bb.8:
	v_ashrrev_i32_e32 v15, 31, v14
	v_lshlrev_b64 v[15:16], 2, v[14:15]
	v_mov_b32_e32 v12, s11
	v_add_co_u32_e32 v15, vcc, s10, v15
	v_addc_co_u32_e32 v16, vcc, v12, v16, vcc
	global_load_dword v12, v[15:16], off
	s_waitcnt vmcnt(0)
	v_subrev_u32_e32 v12, s20, v12
.LBB19_9:
	s_or_b64 exec, exec, s[6:7]
	s_load_dwordx2 s[6:7], s[4:5], 0x50
	v_cmp_ge_i32_e32 vcc, v1, v2
	v_mov_b32_e32 v21, s14
	s_and_saveexec_b64 s[8:9], vcc
	s_xor_b64 s[8:9], exec, s[8:9]
; %bb.10:
	v_mov_b32_e32 v21, s14
; %bb.11:
	s_or_saveexec_b64 s[18:19], s[8:9]
	s_load_dwordx2 s[8:9], s[4:5], 0x68
	s_load_dwordx2 s[12:13], s[4:5], 0x58
	;; [unrolled: 1-line block ×3, first 2 shown]
	v_subrev_u32_e32 v15, s21, v1
	v_mov_b32_e32 v1, v21
	s_xor_b64 exec, exec, s[18:19]
	s_cbranch_execz .LBB19_13
; %bb.12:
	v_ashrrev_i32_e32 v16, 31, v15
	v_lshlrev_b64 v[16:17], 2, v[15:16]
	s_waitcnt lgkmcnt(0)
	v_mov_b32_e32 v1, s7
	v_add_co_u32_e32 v16, vcc, s6, v16
	v_addc_co_u32_e32 v17, vcc, v1, v17, vcc
	global_load_dword v1, v[16:17], off
	s_waitcnt vmcnt(0)
	v_subrev_u32_e32 v1, s21, v1
.LBB19_13:
	s_or_b64 exec, exec, s[18:19]
	v_and_b32_e32 v16, 0xc0, v0
	v_or_b32_e32 v22, 0x1000, v16
	v_lshlrev_b32_e32 v23, 4, v16
	v_min_i32_e32 v16, v1, v12
	v_mbcnt_lo_u32_b32 v1, -1, 0
	v_mbcnt_hi_u32_b32 v1, -1, v1
	v_subrev_u32_e32 v25, s21, v2
	v_and_b32_e32 v2, 64, v1
	v_subrev_u32_e32 v26, s22, v3
	v_add_u32_e32 v2, 64, v2
	v_xor_b32_e32 v3, 32, v1
	v_subrev_u32_e32 v24, s20, v13
	v_and_b32_e32 v0, 63, v0
	v_xor_b32_e32 v13, 16, v1
	v_cmp_lt_i32_e32 vcc, v3, v2
	v_add_u32_e32 v12, v14, v0
	v_add_u32_e32 v14, v15, v0
	v_xor_b32_e32 v15, 8, v1
	v_cndmask_b32_e32 v3, v1, v3, vcc
	v_cmp_lt_i32_e32 vcc, v13, v2
	v_xor_b32_e32 v17, 4, v1
	v_cndmask_b32_e32 v13, v1, v13, vcc
	v_cmp_lt_i32_e32 vcc, v15, v2
	;; [unrolled: 3-line block ×4, first 2 shown]
	v_cndmask_b32_e32 v18, v1, v18, vcc
	v_cmp_lt_i32_e32 vcc, v19, v2
	v_cndmask_b32_e32 v1, v1, v19, vcc
	v_xor_b32_e32 v19, 63, v0
	v_lshlrev_b32_e32 v32, 2, v18
	v_mov_b32_e32 v18, 0
	v_lshrrev_b64 v[19:20], v19, -1
	v_lshl_or_b32 v27, v0, 4, v23
	v_lshlrev_b32_e32 v28, 2, v3
	v_lshlrev_b32_e32 v29, 2, v13
	;; [unrolled: 1-line block ×5, first 2 shown]
	s_mov_b64 s[18:19], 0
	v_add_u32_e32 v34, v22, v0
	v_mov_b32_e32 v0, v18
	v_mov_b32_e32 v1, v18
	;; [unrolled: 1-line block ×5, first 2 shown]
	s_branch .LBB19_15
.LBB19_14:                              ;   in Loop: Header=BB19_15 Depth=1
	s_or_b64 exec, exec, s[22:23]
	ds_bpermute_b32 v13, v28, v36
	s_bcnt1_i32_b64 s22, vcc
	v_add_u32_e32 v26, s22, v26
	s_waitcnt lgkmcnt(0)
	v_min_i32_e32 v13, v13, v36
	ds_bpermute_b32 v15, v29, v13
	s_waitcnt lgkmcnt(0)
	v_min_i32_e32 v13, v15, v13
	ds_bpermute_b32 v15, v30, v13
	;; [unrolled: 3-line block ×5, first 2 shown]
	s_waitcnt lgkmcnt(0)
	v_min_i32_e32 v16, v15, v13
	v_ashrrev_i32_e32 v17, 31, v16
	v_cmp_le_i64_e64 s[4:5], s[14:15], v[16:17]
	s_or_b64 s[18:19], s[4:5], s[18:19]
	s_andn2_b64 exec, exec, s[18:19]
	s_cbranch_execz .LBB19_37
.LBB19_15:                              ; =>This Loop Header: Depth=1
                                        ;     Child Loop BB19_18 Depth 2
                                        ;     Child Loop BB19_28 Depth 2
	v_cmp_lt_i32_e32 vcc, v12, v24
	v_mov_b32_e32 v36, v21
	ds_write_b8 v34, v18
	ds_write_b128 v27, v[0:3]
	s_waitcnt lgkmcnt(0)
	s_and_saveexec_b64 s[22:23], vcc
	s_cbranch_execz .LBB19_25
; %bb.16:                               ;   in Loop: Header=BB19_15 Depth=1
	s_mov_b64 s[24:25], 0
	v_mov_b32_e32 v36, v21
	s_branch .LBB19_18
.LBB19_17:                              ;   in Loop: Header=BB19_18 Depth=2
	s_or_b64 exec, exec, s[26:27]
	s_and_b64 s[4:5], exec, s[4:5]
	s_or_b64 s[24:25], s[4:5], s[24:25]
	s_andn2_b64 exec, exec, s[24:25]
	s_cbranch_execz .LBB19_24
.LBB19_18:                              ;   Parent Loop BB19_15 Depth=1
                                        ; =>  This Inner Loop Header: Depth=2
	v_ashrrev_i32_e32 v13, 31, v12
	v_lshlrev_b64 v[37:38], 2, v[12:13]
	v_mov_b32_e32 v15, s11
	v_add_co_u32_e32 v37, vcc, s10, v37
	v_addc_co_u32_e32 v38, vcc, v15, v38, vcc
	global_load_dword v15, v[37:38], off
	s_waitcnt vmcnt(0)
	v_subrev_u32_e32 v17, s20, v15
	v_sub_u32_e32 v15, v17, v16
	v_cmp_gt_u32_e32 vcc, 64, v15
	v_cmp_lt_u32_e64 s[4:5], 63, v15
	s_and_saveexec_b64 s[26:27], s[4:5]
	s_xor_b64 s[4:5], exec, s[26:27]
	s_cbranch_execnz .LBB19_21
; %bb.19:                               ;   in Loop: Header=BB19_18 Depth=2
	s_andn2_saveexec_b64 s[26:27], s[4:5]
	s_cbranch_execnz .LBB19_22
.LBB19_20:                              ;   in Loop: Header=BB19_18 Depth=2
	s_or_b64 exec, exec, s[26:27]
	s_mov_b64 s[4:5], -1
	s_and_saveexec_b64 s[26:27], vcc
	s_cbranch_execz .LBB19_17
	s_branch .LBB19_23
.LBB19_21:                              ;   in Loop: Header=BB19_18 Depth=2
	v_min_i32_e32 v36, v17, v36
                                        ; implicit-def: $vgpr15
	s_andn2_saveexec_b64 s[26:27], s[4:5]
	s_cbranch_execz .LBB19_20
.LBB19_22:                              ;   in Loop: Header=BB19_18 Depth=2
	v_lshlrev_b64 v[37:38], 4, v[12:13]
	v_mov_b32_e32 v13, s17
	v_add_co_u32_e64 v37, s[4:5], s16, v37
	v_addc_co_u32_e64 v38, s[4:5], v13, v38, s[4:5]
	global_load_dwordx4 v[37:40], v[37:38], off
	v_add_u32_e32 v13, v22, v15
	ds_write_b8 v13, v35
	v_lshl_add_u32 v13, v15, 4, v23
	s_waitcnt vmcnt(0)
	v_mul_f64 v[41:42], v[39:40], -v[8:9]
	v_mul_f64 v[43:44], v[4:5], v[39:40]
	v_fma_f64 v[39:40], v[4:5], v[37:38], v[41:42]
	v_fma_f64 v[41:42], v[8:9], v[37:38], v[43:44]
	ds_write_b128 v13, v[39:42]
	s_or_b64 exec, exec, s[26:27]
	s_mov_b64 s[4:5], -1
	s_and_saveexec_b64 s[26:27], vcc
	s_cbranch_execz .LBB19_17
.LBB19_23:                              ;   in Loop: Header=BB19_18 Depth=2
	v_add_u32_e32 v12, 64, v12
	v_cmp_ge_i32_e32 vcc, v12, v24
	s_orn2_b64 s[4:5], vcc, exec
	s_branch .LBB19_17
.LBB19_24:                              ;   in Loop: Header=BB19_15 Depth=1
	s_or_b64 exec, exec, s[24:25]
.LBB19_25:                              ;   in Loop: Header=BB19_15 Depth=1
	s_or_b64 exec, exec, s[22:23]
	v_cmp_lt_i32_e32 vcc, v14, v25
	s_waitcnt lgkmcnt(0)
	s_and_saveexec_b64 s[22:23], vcc
	s_cbranch_execz .LBB19_35
; %bb.26:                               ;   in Loop: Header=BB19_15 Depth=1
	s_mov_b64 s[24:25], 0
	s_branch .LBB19_28
.LBB19_27:                              ;   in Loop: Header=BB19_28 Depth=2
	s_or_b64 exec, exec, s[26:27]
	s_and_b64 s[4:5], exec, s[4:5]
	s_or_b64 s[24:25], s[4:5], s[24:25]
	s_andn2_b64 exec, exec, s[24:25]
	s_cbranch_execz .LBB19_34
.LBB19_28:                              ;   Parent Loop BB19_15 Depth=1
                                        ; =>  This Inner Loop Header: Depth=2
	v_ashrrev_i32_e32 v15, 31, v14
	v_lshlrev_b64 v[37:38], 2, v[14:15]
	v_mov_b32_e32 v13, s7
	v_add_co_u32_e32 v37, vcc, s6, v37
	v_addc_co_u32_e32 v38, vcc, v13, v38, vcc
	global_load_dword v13, v[37:38], off
	s_waitcnt vmcnt(0)
	v_subrev_u32_e32 v17, s21, v13
	v_sub_u32_e32 v13, v17, v16
	v_cmp_gt_u32_e32 vcc, 64, v13
	v_cmp_lt_u32_e64 s[4:5], 63, v13
	s_and_saveexec_b64 s[26:27], s[4:5]
	s_xor_b64 s[4:5], exec, s[26:27]
	s_cbranch_execnz .LBB19_31
; %bb.29:                               ;   in Loop: Header=BB19_28 Depth=2
	s_andn2_saveexec_b64 s[26:27], s[4:5]
	s_cbranch_execnz .LBB19_32
.LBB19_30:                              ;   in Loop: Header=BB19_28 Depth=2
	s_or_b64 exec, exec, s[26:27]
	s_mov_b64 s[4:5], -1
	s_and_saveexec_b64 s[26:27], vcc
	s_cbranch_execz .LBB19_27
	s_branch .LBB19_33
.LBB19_31:                              ;   in Loop: Header=BB19_28 Depth=2
	v_min_i32_e32 v36, v17, v36
                                        ; implicit-def: $vgpr13
	s_andn2_saveexec_b64 s[26:27], s[4:5]
	s_cbranch_execz .LBB19_30
.LBB19_32:                              ;   in Loop: Header=BB19_28 Depth=2
	v_lshlrev_b64 v[37:38], 4, v[14:15]
	v_mov_b32_e32 v15, s13
	v_add_co_u32_e64 v37, s[4:5], s12, v37
	v_addc_co_u32_e64 v38, s[4:5], v15, v38, s[4:5]
	global_load_dwordx4 v[37:40], v[37:38], off
	v_lshl_add_u32 v15, v13, 4, v23
	ds_read_b128 v[41:44], v15
	v_add_u32_e32 v13, v22, v13
	s_waitcnt vmcnt(0) lgkmcnt(0)
	v_fma_f64 v[41:42], v[10:11], v[37:38], v[41:42]
	v_fma_f64 v[43:44], v[6:7], v[37:38], v[43:44]
	v_fma_f64 v[37:38], -v[6:7], v[39:40], v[41:42]
	v_fma_f64 v[39:40], v[10:11], v[39:40], v[43:44]
	ds_write_b8 v13, v35
	ds_write_b128 v15, v[37:40]
	s_or_b64 exec, exec, s[26:27]
	s_mov_b64 s[4:5], -1
	s_and_saveexec_b64 s[26:27], vcc
	s_cbranch_execz .LBB19_27
.LBB19_33:                              ;   in Loop: Header=BB19_28 Depth=2
	v_add_u32_e32 v14, 64, v14
	v_cmp_ge_i32_e32 vcc, v14, v25
	s_orn2_b64 s[4:5], vcc, exec
	s_branch .LBB19_27
.LBB19_34:                              ;   in Loop: Header=BB19_15 Depth=1
	s_or_b64 exec, exec, s[24:25]
.LBB19_35:                              ;   in Loop: Header=BB19_15 Depth=1
	s_or_b64 exec, exec, s[22:23]
	s_waitcnt lgkmcnt(0)
	ds_read_u8 v13, v34
	s_waitcnt lgkmcnt(0)
	v_and_b32_e32 v15, 1, v13
	v_cmp_eq_u32_e64 s[4:5], 1, v15
	v_cmp_ne_u16_e32 vcc, 0, v13
	s_and_saveexec_b64 s[22:23], s[4:5]
	s_cbranch_execz .LBB19_14
; %bb.36:                               ;   in Loop: Header=BB19_15 Depth=1
	v_and_b32_e32 v15, vcc_lo, v19
	v_and_b32_e32 v13, vcc_hi, v20
	v_bcnt_u32_b32 v15, v15, 0
	v_bcnt_u32_b32 v13, v13, v15
	v_add3_u32 v17, v26, v13, -1
	ds_read2_b64 v[37:40], v27 offset1:1
	v_lshlrev_b64 v[15:16], 4, v[17:18]
	v_mov_b32_e32 v13, s9
	v_add_co_u32_e64 v15, s[4:5], s8, v15
	v_addc_co_u32_e64 v16, s[4:5], v13, v16, s[4:5]
	s_waitcnt lgkmcnt(0)
	global_store_dwordx4 v[15:16], v[37:40], off
	s_branch .LBB19_14
.LBB19_37:
	s_endpgm
	.section	.rodata,"a",@progbits
	.p2align	6, 0x0
	.amdhsa_kernel _ZN9rocsparseL37csrgeam_fill_numeric_multipass_kernelILj256ELj64Eii21rocsparse_complex_numIdEEEvllNS_24const_host_device_scalarIT3_EEPKT1_PKT2_PKS4_S5_S8_SB_SD_S8_PS4_21rocsparse_index_base_SF_SF_bbb
		.amdhsa_group_segment_fixed_size 4352
		.amdhsa_private_segment_fixed_size 24
		.amdhsa_kernarg_size 128
		.amdhsa_user_sgpr_count 8
		.amdhsa_user_sgpr_private_segment_buffer 1
		.amdhsa_user_sgpr_dispatch_ptr 0
		.amdhsa_user_sgpr_queue_ptr 0
		.amdhsa_user_sgpr_kernarg_segment_ptr 1
		.amdhsa_user_sgpr_dispatch_id 0
		.amdhsa_user_sgpr_flat_scratch_init 1
		.amdhsa_user_sgpr_private_segment_size 0
		.amdhsa_uses_dynamic_stack 0
		.amdhsa_system_sgpr_private_segment_wavefront_offset 1
		.amdhsa_system_sgpr_workgroup_id_x 1
		.amdhsa_system_sgpr_workgroup_id_y 0
		.amdhsa_system_sgpr_workgroup_id_z 0
		.amdhsa_system_sgpr_workgroup_info 0
		.amdhsa_system_vgpr_workitem_id 0
		.amdhsa_next_free_vgpr 45
		.amdhsa_next_free_sgpr 32
		.amdhsa_reserve_vcc 1
		.amdhsa_reserve_flat_scratch 1
		.amdhsa_float_round_mode_32 0
		.amdhsa_float_round_mode_16_64 0
		.amdhsa_float_denorm_mode_32 3
		.amdhsa_float_denorm_mode_16_64 3
		.amdhsa_dx10_clamp 1
		.amdhsa_ieee_mode 1
		.amdhsa_fp16_overflow 0
		.amdhsa_exception_fp_ieee_invalid_op 0
		.amdhsa_exception_fp_denorm_src 0
		.amdhsa_exception_fp_ieee_div_zero 0
		.amdhsa_exception_fp_ieee_overflow 0
		.amdhsa_exception_fp_ieee_underflow 0
		.amdhsa_exception_fp_ieee_inexact 0
		.amdhsa_exception_int_div_zero 0
	.end_amdhsa_kernel
	.section	.text._ZN9rocsparseL37csrgeam_fill_numeric_multipass_kernelILj256ELj64Eii21rocsparse_complex_numIdEEEvllNS_24const_host_device_scalarIT3_EEPKT1_PKT2_PKS4_S5_S8_SB_SD_S8_PS4_21rocsparse_index_base_SF_SF_bbb,"axG",@progbits,_ZN9rocsparseL37csrgeam_fill_numeric_multipass_kernelILj256ELj64Eii21rocsparse_complex_numIdEEEvllNS_24const_host_device_scalarIT3_EEPKT1_PKT2_PKS4_S5_S8_SB_SD_S8_PS4_21rocsparse_index_base_SF_SF_bbb,comdat
.Lfunc_end19:
	.size	_ZN9rocsparseL37csrgeam_fill_numeric_multipass_kernelILj256ELj64Eii21rocsparse_complex_numIdEEEvllNS_24const_host_device_scalarIT3_EEPKT1_PKT2_PKS4_S5_S8_SB_SD_S8_PS4_21rocsparse_index_base_SF_SF_bbb, .Lfunc_end19-_ZN9rocsparseL37csrgeam_fill_numeric_multipass_kernelILj256ELj64Eii21rocsparse_complex_numIdEEEvllNS_24const_host_device_scalarIT3_EEPKT1_PKT2_PKS4_S5_S8_SB_SD_S8_PS4_21rocsparse_index_base_SF_SF_bbb
                                        ; -- End function
	.set _ZN9rocsparseL37csrgeam_fill_numeric_multipass_kernelILj256ELj64Eii21rocsparse_complex_numIdEEEvllNS_24const_host_device_scalarIT3_EEPKT1_PKT2_PKS4_S5_S8_SB_SD_S8_PS4_21rocsparse_index_base_SF_SF_bbb.num_vgpr, 45
	.set _ZN9rocsparseL37csrgeam_fill_numeric_multipass_kernelILj256ELj64Eii21rocsparse_complex_numIdEEEvllNS_24const_host_device_scalarIT3_EEPKT1_PKT2_PKS4_S5_S8_SB_SD_S8_PS4_21rocsparse_index_base_SF_SF_bbb.num_agpr, 0
	.set _ZN9rocsparseL37csrgeam_fill_numeric_multipass_kernelILj256ELj64Eii21rocsparse_complex_numIdEEEvllNS_24const_host_device_scalarIT3_EEPKT1_PKT2_PKS4_S5_S8_SB_SD_S8_PS4_21rocsparse_index_base_SF_SF_bbb.numbered_sgpr, 32
	.set _ZN9rocsparseL37csrgeam_fill_numeric_multipass_kernelILj256ELj64Eii21rocsparse_complex_numIdEEEvllNS_24const_host_device_scalarIT3_EEPKT1_PKT2_PKS4_S5_S8_SB_SD_S8_PS4_21rocsparse_index_base_SF_SF_bbb.num_named_barrier, 0
	.set _ZN9rocsparseL37csrgeam_fill_numeric_multipass_kernelILj256ELj64Eii21rocsparse_complex_numIdEEEvllNS_24const_host_device_scalarIT3_EEPKT1_PKT2_PKS4_S5_S8_SB_SD_S8_PS4_21rocsparse_index_base_SF_SF_bbb.private_seg_size, 24
	.set _ZN9rocsparseL37csrgeam_fill_numeric_multipass_kernelILj256ELj64Eii21rocsparse_complex_numIdEEEvllNS_24const_host_device_scalarIT3_EEPKT1_PKT2_PKS4_S5_S8_SB_SD_S8_PS4_21rocsparse_index_base_SF_SF_bbb.uses_vcc, 1
	.set _ZN9rocsparseL37csrgeam_fill_numeric_multipass_kernelILj256ELj64Eii21rocsparse_complex_numIdEEEvllNS_24const_host_device_scalarIT3_EEPKT1_PKT2_PKS4_S5_S8_SB_SD_S8_PS4_21rocsparse_index_base_SF_SF_bbb.uses_flat_scratch, 1
	.set _ZN9rocsparseL37csrgeam_fill_numeric_multipass_kernelILj256ELj64Eii21rocsparse_complex_numIdEEEvllNS_24const_host_device_scalarIT3_EEPKT1_PKT2_PKS4_S5_S8_SB_SD_S8_PS4_21rocsparse_index_base_SF_SF_bbb.has_dyn_sized_stack, 0
	.set _ZN9rocsparseL37csrgeam_fill_numeric_multipass_kernelILj256ELj64Eii21rocsparse_complex_numIdEEEvllNS_24const_host_device_scalarIT3_EEPKT1_PKT2_PKS4_S5_S8_SB_SD_S8_PS4_21rocsparse_index_base_SF_SF_bbb.has_recursion, 0
	.set _ZN9rocsparseL37csrgeam_fill_numeric_multipass_kernelILj256ELj64Eii21rocsparse_complex_numIdEEEvllNS_24const_host_device_scalarIT3_EEPKT1_PKT2_PKS4_S5_S8_SB_SD_S8_PS4_21rocsparse_index_base_SF_SF_bbb.has_indirect_call, 0
	.section	.AMDGPU.csdata,"",@progbits
; Kernel info:
; codeLenInByte = 1704
; TotalNumSgprs: 38
; NumVgprs: 45
; ScratchSize: 24
; MemoryBound: 0
; FloatMode: 240
; IeeeMode: 1
; LDSByteSize: 4352 bytes/workgroup (compile time only)
; SGPRBlocks: 4
; VGPRBlocks: 11
; NumSGPRsForWavesPerEU: 38
; NumVGPRsForWavesPerEU: 45
; Occupancy: 5
; WaveLimiterHint : 1
; COMPUTE_PGM_RSRC2:SCRATCH_EN: 1
; COMPUTE_PGM_RSRC2:USER_SGPR: 8
; COMPUTE_PGM_RSRC2:TRAP_HANDLER: 0
; COMPUTE_PGM_RSRC2:TGID_X_EN: 1
; COMPUTE_PGM_RSRC2:TGID_Y_EN: 0
; COMPUTE_PGM_RSRC2:TGID_Z_EN: 0
; COMPUTE_PGM_RSRC2:TIDIG_COMP_CNT: 0
	.section	.text._ZN9rocsparseL37csrgeam_fill_numeric_multipass_kernelILj256ELj32Eli21rocsparse_complex_numIdEEEvllNS_24const_host_device_scalarIT3_EEPKT1_PKT2_PKS4_S5_S8_SB_SD_S8_PS4_21rocsparse_index_base_SF_SF_bbb,"axG",@progbits,_ZN9rocsparseL37csrgeam_fill_numeric_multipass_kernelILj256ELj32Eli21rocsparse_complex_numIdEEEvllNS_24const_host_device_scalarIT3_EEPKT1_PKT2_PKS4_S5_S8_SB_SD_S8_PS4_21rocsparse_index_base_SF_SF_bbb,comdat
	.globl	_ZN9rocsparseL37csrgeam_fill_numeric_multipass_kernelILj256ELj32Eli21rocsparse_complex_numIdEEEvllNS_24const_host_device_scalarIT3_EEPKT1_PKT2_PKS4_S5_S8_SB_SD_S8_PS4_21rocsparse_index_base_SF_SF_bbb ; -- Begin function _ZN9rocsparseL37csrgeam_fill_numeric_multipass_kernelILj256ELj32Eli21rocsparse_complex_numIdEEEvllNS_24const_host_device_scalarIT3_EEPKT1_PKT2_PKS4_S5_S8_SB_SD_S8_PS4_21rocsparse_index_base_SF_SF_bbb
	.p2align	8
	.type	_ZN9rocsparseL37csrgeam_fill_numeric_multipass_kernelILj256ELj32Eli21rocsparse_complex_numIdEEEvllNS_24const_host_device_scalarIT3_EEPKT1_PKT2_PKS4_S5_S8_SB_SD_S8_PS4_21rocsparse_index_base_SF_SF_bbb,@function
_ZN9rocsparseL37csrgeam_fill_numeric_multipass_kernelILj256ELj32Eli21rocsparse_complex_numIdEEEvllNS_24const_host_device_scalarIT3_EEPKT1_PKT2_PKS4_S5_S8_SB_SD_S8_PS4_21rocsparse_index_base_SF_SF_bbb: ; @_ZN9rocsparseL37csrgeam_fill_numeric_multipass_kernelILj256ELj32Eli21rocsparse_complex_numIdEEEvllNS_24const_host_device_scalarIT3_EEPKT1_PKT2_PKS4_S5_S8_SB_SD_S8_PS4_21rocsparse_index_base_SF_SF_bbb
; %bb.0:
	s_add_u32 flat_scratch_lo, s6, s9
	s_addc_u32 flat_scratch_hi, s7, 0
	s_add_u32 s0, s0, s9
	s_load_dword s9, s[4:5], 0x7c
	s_load_dwordx8 s[12:19], s[4:5], 0x0
	s_load_dwordx4 s[24:27], s[4:5], 0x38
	s_load_dwordx4 s[20:23], s[4:5], 0x70
	s_addc_u32 s1, s1, 0
	s_waitcnt lgkmcnt(0)
	s_bitcmp1_b32 s9, 16
	v_mov_b32_e32 v1, s17
	buffer_store_dword v1, off, s[0:3], 0 offset:4
	v_mov_b32_e32 v1, s16
	s_cselect_b64 s[10:11], -1, 0
	buffer_store_dword v1, off, s[0:3], 0
	v_mov_b32_e32 v1, s25
	s_xor_b64 s[6:7], s[10:11], -1
	buffer_store_dword v1, off, s[0:3], 0 offset:12
	v_mov_b32_e32 v1, s24
	buffer_store_dword v1, off, s[0:3], 0 offset:8
	v_mov_b32_e32 v11, 0
	v_cndmask_b32_e64 v1, 0, 1, s[6:7]
	v_mov_b32_e32 v9, 0
	v_mov_b32_e32 v13, 0
	;; [unrolled: 1-line block ×3, first 2 shown]
	s_bitcmp0_b32 s23, 0
	v_mov_b32_e32 v10, 0
	v_mov_b32_e32 v14, 0
	v_cmp_ne_u32_e64 s[6:7], 1, v1
	s_cbranch_scc1 .LBB20_3
; %bb.1:
	s_mov_b64 s[28:29], src_private_base
	s_and_b64 s[30:31], s[10:11], exec
	s_cselect_b32 s23, s29, s17
	s_cselect_b32 s28, 0, s16
	v_mov_b32_e32 v1, s28
	v_mov_b32_e32 v2, s23
	flat_load_dwordx2 v[9:10], v[1:2]
	v_mov_b32_e32 v13, s18
	s_and_b64 vcc, exec, s[6:7]
	v_mov_b32_e32 v14, s19
	s_cbranch_vccnz .LBB20_3
; %bb.2:
	v_mov_b32_e32 v1, s16
	v_mov_b32_e32 v2, s17
	flat_load_dwordx2 v[13:14], v[1:2] offset:8
.LBB20_3:
	s_bfe_u32 s9, s9, 0x10008
	v_mov_b32_e32 v15, 0
	s_cmp_eq_u32 s9, 0
	v_mov_b32_e32 v16, 0
	s_cbranch_scc1 .LBB20_6
; %bb.4:
	s_mov_b64 s[16:17], src_private_base
	s_and_b64 s[10:11], s[10:11], exec
	s_cselect_b32 s9, s17, s25
	s_cselect_b32 s10, 8, s24
	v_mov_b32_e32 v1, s10
	v_mov_b32_e32 v2, s9
	flat_load_dwordx2 v[15:16], v[1:2]
	v_mov_b32_e32 v11, s26
	s_and_b64 vcc, exec, s[6:7]
	v_mov_b32_e32 v12, s27
	s_cbranch_vccnz .LBB20_6
; %bb.5:
	v_mov_b32_e32 v1, s24
	v_mov_b32_e32 v2, s25
	flat_load_dwordx2 v[11:12], v[1:2] offset:8
.LBB20_6:
	s_lshl_b32 s6, s8, 3
	v_lshrrev_b32_e32 v1, 5, v0
	s_and_b32 s6, s6, 0x7fffff8
	v_or_b32_e32 v1, s6, v1
	v_mov_b32_e32 v2, 0
	v_cmp_gt_i64_e32 vcc, s[12:13], v[1:2]
	s_and_saveexec_b64 s[6:7], vcc
	s_cbranch_execz .LBB20_37
; %bb.7:
	s_load_dwordx4 s[8:11], s[4:5], 0x20
	s_load_dwordx2 s[6:7], s[4:5], 0x48
	s_load_dwordx2 s[12:13], s[4:5], 0x60
	v_lshlrev_b32_e32 v19, 3, v1
	s_waitcnt lgkmcnt(0)
	global_load_dwordx4 v[1:4], v19, s[8:9]
	global_load_dwordx4 v[5:8], v19, s[6:7]
	global_load_dwordx2 v[17:18], v19, s[12:13]
	s_waitcnt vmcnt(0)
	v_cmp_ge_i64_e32 vcc, v[1:2], v[3:4]
	v_subrev_co_u32_e64 v1, s[6:7], s20, v1
	v_subbrev_co_u32_e64 v2, s[6:7], 0, v2, s[6:7]
	s_and_saveexec_b64 s[6:7], vcc
	s_xor_b64 s[6:7], exec, s[6:7]
	s_or_saveexec_b64 s[6:7], s[6:7]
	v_mov_b32_e32 v19, s14
	s_xor_b64 exec, exec, s[6:7]
	s_cbranch_execz .LBB20_9
; %bb.8:
	v_lshlrev_b64 v[19:20], 2, v[1:2]
	v_mov_b32_e32 v21, s11
	v_add_co_u32_e32 v19, vcc, s10, v19
	v_addc_co_u32_e32 v20, vcc, v21, v20, vcc
	global_load_dword v19, v[19:20], off
	s_waitcnt vmcnt(0)
	v_subrev_u32_e32 v19, s20, v19
.LBB20_9:
	s_or_b64 exec, exec, s[6:7]
	s_load_dwordx4 s[16:19], s[4:5], 0x50
	s_load_dwordx2 s[8:9], s[4:5], 0x30
	v_subrev_co_u32_e32 v21, vcc, s21, v5
	v_subbrev_co_u32_e32 v22, vcc, 0, v6, vcc
	v_cmp_ge_i64_e32 vcc, v[5:6], v[7:8]
	s_mov_b32 s23, s21
	v_mov_b32_e32 v28, s14
	s_and_saveexec_b64 s[6:7], vcc
	s_xor_b64 s[6:7], exec, s[6:7]
; %bb.10:
	v_mov_b32_e32 v28, s14
; %bb.11:
	s_or_saveexec_b64 s[12:13], s[6:7]
	s_load_dwordx2 s[6:7], s[4:5], 0x68
	v_mov_b32_e32 v20, v28
	s_xor_b64 exec, exec, s[12:13]
	s_cbranch_execz .LBB20_13
; %bb.12:
	v_lshlrev_b64 v[5:6], 2, v[21:22]
	s_waitcnt lgkmcnt(0)
	v_mov_b32_e32 v20, s17
	v_add_co_u32_e32 v5, vcc, s16, v5
	v_addc_co_u32_e32 v6, vcc, v20, v6, vcc
	global_load_dword v5, v[5:6], off
	s_waitcnt vmcnt(0)
	v_subrev_u32_e32 v20, s21, v5
.LBB20_13:
	s_or_b64 exec, exec, s[12:13]
	v_and_b32_e32 v5, 0xe0, v0
	v_or_b32_e32 v29, 0x1000, v5
	v_lshlrev_b32_e32 v30, 4, v5
	v_subrev_co_u32_e32 v5, vcc, s20, v3
	v_subbrev_co_u32_e32 v6, vcc, 0, v4, vcc
	v_subrev_co_u32_e32 v7, vcc, s23, v7
	v_subbrev_co_u32_e32 v8, vcc, 0, v8, vcc
	;; [unrolled: 2-line block ×3, first 2 shown]
	v_and_b32_e32 v0, 31, v0
	v_min_i32_e32 v23, v20, v19
	v_add_co_u32_e32 v19, vcc, v1, v0
	v_mbcnt_lo_u32_b32 v1, -1, 0
	v_addc_co_u32_e32 v20, vcc, 0, v2, vcc
	v_mbcnt_hi_u32_b32 v1, -1, v1
	v_add_co_u32_e32 v21, vcc, v21, v0
	v_and_b32_e32 v2, 64, v1
	v_xor_b32_e32 v3, 31, v0
	v_addc_co_u32_e32 v22, vcc, 0, v22, vcc
	v_add_u32_e32 v2, 64, v2
	v_lshrrev_b32_e64 v31, v3, -1
	v_xor_b32_e32 v3, 16, v1
	v_cmp_lt_i32_e32 vcc, v3, v2
	v_cndmask_b32_e32 v3, v1, v3, vcc
	v_lshlrev_b32_e32 v32, 2, v3
	v_xor_b32_e32 v3, 8, v1
	v_cmp_lt_i32_e32 vcc, v3, v2
	v_cndmask_b32_e32 v3, v1, v3, vcc
	v_lshlrev_b32_e32 v33, 2, v3
	;; [unrolled: 4-line block ×4, first 2 shown]
	v_xor_b32_e32 v3, 1, v1
	s_waitcnt lgkmcnt(0)
	s_add_u32 s24, s8, 8
	v_cmp_lt_i32_e32 vcc, v3, v2
	s_addc_u32 s25, s9, 0
	v_lshl_or_b32 v4, v0, 4, v30
	v_cndmask_b32_e32 v1, v1, v3, vcc
	s_add_u32 s26, s18, 8
	v_add_u32_e32 v37, v29, v0
	v_mov_b32_e32 v0, 0
	v_lshlrev_b32_e32 v36, 2, v1
	s_addc_u32 s27, s19, 0
	s_mov_b64 s[8:9], 0
	v_mov_b32_e32 v1, v0
	v_mov_b32_e32 v2, v0
	v_mov_b32_e32 v3, v0
	v_mov_b32_e32 v38, 1
	s_branch .LBB20_15
.LBB20_14:                              ;   in Loop: Header=BB20_15 Depth=1
	s_or_b64 exec, exec, s[12:13]
	ds_bpermute_b32 v23, v32, v39
	s_bcnt1_i32_b64 s12, vcc
	v_add_co_u32_e32 v17, vcc, s12, v17
	v_addc_co_u32_e32 v18, vcc, 0, v18, vcc
	s_waitcnt lgkmcnt(0)
	v_min_i32_e32 v23, v23, v39
	ds_bpermute_b32 v24, v33, v23
	s_waitcnt lgkmcnt(0)
	v_min_i32_e32 v23, v24, v23
	ds_bpermute_b32 v24, v34, v23
	;; [unrolled: 3-line block ×4, first 2 shown]
	s_waitcnt lgkmcnt(0)
	v_min_i32_e32 v23, v24, v23
	v_ashrrev_i32_e32 v24, 31, v23
	v_cmp_le_i64_e64 s[4:5], s[14:15], v[23:24]
	s_or_b64 s[8:9], s[4:5], s[8:9]
	s_andn2_b64 exec, exec, s[8:9]
	s_cbranch_execz .LBB20_37
.LBB20_15:                              ; =>This Loop Header: Depth=1
                                        ;     Child Loop BB20_18 Depth 2
                                        ;     Child Loop BB20_28 Depth 2
	v_cmp_lt_i64_e32 vcc, v[19:20], v[5:6]
	v_mov_b32_e32 v39, v28
	ds_write_b8 v37, v0
	ds_write_b128 v4, v[0:3]
	s_waitcnt lgkmcnt(0)
	s_and_saveexec_b64 s[12:13], vcc
	s_cbranch_execz .LBB20_25
; %bb.16:                               ;   in Loop: Header=BB20_15 Depth=1
	v_lshlrev_b64 v[24:25], 2, v[19:20]
	v_mov_b32_e32 v26, s11
	v_add_co_u32_e32 v24, vcc, s10, v24
	v_addc_co_u32_e32 v25, vcc, v26, v25, vcc
	v_lshlrev_b64 v[26:27], 4, v[19:20]
	v_mov_b32_e32 v39, s25
	v_add_co_u32_e32 v26, vcc, s24, v26
	v_addc_co_u32_e32 v27, vcc, v39, v27, vcc
	s_mov_b64 s[18:19], 0
	v_mov_b32_e32 v39, v28
	s_branch .LBB20_18
.LBB20_17:                              ;   in Loop: Header=BB20_18 Depth=2
	s_or_b64 exec, exec, s[22:23]
	s_and_b64 s[4:5], exec, s[4:5]
	s_or_b64 s[18:19], s[4:5], s[18:19]
	s_andn2_b64 exec, exec, s[18:19]
	s_cbranch_execz .LBB20_24
.LBB20_18:                              ;   Parent Loop BB20_15 Depth=1
                                        ; =>  This Inner Loop Header: Depth=2
	global_load_dword v40, v[24:25], off
	s_waitcnt vmcnt(0)
	v_subrev_u32_e32 v41, s20, v40
	v_sub_u32_e32 v40, v41, v23
	v_cmp_gt_u32_e32 vcc, 32, v40
	v_cmp_lt_u32_e64 s[4:5], 31, v40
	s_and_saveexec_b64 s[22:23], s[4:5]
	s_xor_b64 s[4:5], exec, s[22:23]
	s_cbranch_execnz .LBB20_21
; %bb.19:                               ;   in Loop: Header=BB20_18 Depth=2
	s_andn2_saveexec_b64 s[4:5], s[4:5]
	s_cbranch_execnz .LBB20_22
.LBB20_20:                              ;   in Loop: Header=BB20_18 Depth=2
	s_or_b64 exec, exec, s[4:5]
	s_mov_b64 s[4:5], -1
	s_and_saveexec_b64 s[22:23], vcc
	s_cbranch_execz .LBB20_17
	s_branch .LBB20_23
.LBB20_21:                              ;   in Loop: Header=BB20_18 Depth=2
	v_min_i32_e32 v39, v41, v39
                                        ; implicit-def: $vgpr40
	s_andn2_saveexec_b64 s[4:5], s[4:5]
	s_cbranch_execz .LBB20_20
.LBB20_22:                              ;   in Loop: Header=BB20_18 Depth=2
	global_load_dwordx4 v[41:44], v[26:27], off offset:-8
	s_waitcnt vmcnt(0)
	v_mul_f64 v[45:46], v[43:44], -v[13:14]
	v_mul_f64 v[47:48], v[9:10], v[43:44]
	v_fma_f64 v[43:44], v[9:10], v[41:42], v[45:46]
	v_fma_f64 v[45:46], v[13:14], v[41:42], v[47:48]
	v_add_u32_e32 v41, v29, v40
	v_lshl_add_u32 v40, v40, 4, v30
	ds_write_b8 v41, v38
	ds_write_b128 v40, v[43:46]
	s_or_b64 exec, exec, s[4:5]
	s_mov_b64 s[4:5], -1
	s_and_saveexec_b64 s[22:23], vcc
	s_cbranch_execz .LBB20_17
.LBB20_23:                              ;   in Loop: Header=BB20_18 Depth=2
	v_add_co_u32_e32 v19, vcc, 32, v19
	v_addc_co_u32_e32 v20, vcc, 0, v20, vcc
	v_add_co_u32_e32 v24, vcc, 0x80, v24
	v_addc_co_u32_e32 v25, vcc, 0, v25, vcc
	v_cmp_ge_i64_e64 s[4:5], v[19:20], v[5:6]
	v_add_co_u32_e32 v26, vcc, 0x200, v26
	v_addc_co_u32_e32 v27, vcc, 0, v27, vcc
	s_orn2_b64 s[4:5], s[4:5], exec
	s_branch .LBB20_17
.LBB20_24:                              ;   in Loop: Header=BB20_15 Depth=1
	s_or_b64 exec, exec, s[18:19]
.LBB20_25:                              ;   in Loop: Header=BB20_15 Depth=1
	s_or_b64 exec, exec, s[12:13]
	v_cmp_lt_i64_e32 vcc, v[21:22], v[7:8]
	s_waitcnt lgkmcnt(0)
	s_and_saveexec_b64 s[12:13], vcc
	s_cbranch_execz .LBB20_35
; %bb.26:                               ;   in Loop: Header=BB20_15 Depth=1
	v_lshlrev_b64 v[24:25], 2, v[21:22]
	v_mov_b32_e32 v26, s17
	v_add_co_u32_e32 v24, vcc, s16, v24
	v_addc_co_u32_e32 v25, vcc, v26, v25, vcc
	v_lshlrev_b64 v[26:27], 4, v[21:22]
	v_mov_b32_e32 v40, s27
	v_add_co_u32_e32 v26, vcc, s26, v26
	v_addc_co_u32_e32 v27, vcc, v40, v27, vcc
	s_mov_b64 s[18:19], 0
	s_branch .LBB20_28
.LBB20_27:                              ;   in Loop: Header=BB20_28 Depth=2
	s_or_b64 exec, exec, s[22:23]
	s_and_b64 s[4:5], exec, s[4:5]
	s_or_b64 s[18:19], s[4:5], s[18:19]
	s_andn2_b64 exec, exec, s[18:19]
	s_cbranch_execz .LBB20_34
.LBB20_28:                              ;   Parent Loop BB20_15 Depth=1
                                        ; =>  This Inner Loop Header: Depth=2
	global_load_dword v40, v[24:25], off
	s_waitcnt vmcnt(0)
	v_subrev_u32_e32 v41, s21, v40
	v_sub_u32_e32 v40, v41, v23
	v_cmp_gt_u32_e32 vcc, 32, v40
	v_cmp_lt_u32_e64 s[4:5], 31, v40
	s_and_saveexec_b64 s[22:23], s[4:5]
	s_xor_b64 s[4:5], exec, s[22:23]
	s_cbranch_execnz .LBB20_31
; %bb.29:                               ;   in Loop: Header=BB20_28 Depth=2
	s_andn2_saveexec_b64 s[4:5], s[4:5]
	s_cbranch_execnz .LBB20_32
.LBB20_30:                              ;   in Loop: Header=BB20_28 Depth=2
	s_or_b64 exec, exec, s[4:5]
	s_mov_b64 s[4:5], -1
	s_and_saveexec_b64 s[22:23], vcc
	s_cbranch_execz .LBB20_27
	s_branch .LBB20_33
.LBB20_31:                              ;   in Loop: Header=BB20_28 Depth=2
	v_min_i32_e32 v39, v41, v39
                                        ; implicit-def: $vgpr40
	s_andn2_saveexec_b64 s[4:5], s[4:5]
	s_cbranch_execz .LBB20_30
.LBB20_32:                              ;   in Loop: Header=BB20_28 Depth=2
	global_load_dwordx4 v[41:44], v[26:27], off offset:-8
	v_lshl_add_u32 v49, v40, 4, v30
	ds_read_b128 v[45:48], v49
	v_add_u32_e32 v40, v29, v40
	s_waitcnt vmcnt(0) lgkmcnt(0)
	v_fma_f64 v[45:46], v[15:16], v[41:42], v[45:46]
	v_fma_f64 v[47:48], v[11:12], v[41:42], v[47:48]
	v_fma_f64 v[41:42], -v[11:12], v[43:44], v[45:46]
	v_fma_f64 v[43:44], v[15:16], v[43:44], v[47:48]
	ds_write_b8 v40, v38
	ds_write_b128 v49, v[41:44]
	s_or_b64 exec, exec, s[4:5]
	s_mov_b64 s[4:5], -1
	s_and_saveexec_b64 s[22:23], vcc
	s_cbranch_execz .LBB20_27
.LBB20_33:                              ;   in Loop: Header=BB20_28 Depth=2
	v_add_co_u32_e32 v21, vcc, 32, v21
	v_addc_co_u32_e32 v22, vcc, 0, v22, vcc
	v_add_co_u32_e32 v24, vcc, 0x80, v24
	v_addc_co_u32_e32 v25, vcc, 0, v25, vcc
	v_cmp_ge_i64_e64 s[4:5], v[21:22], v[7:8]
	v_add_co_u32_e32 v26, vcc, 0x200, v26
	v_addc_co_u32_e32 v27, vcc, 0, v27, vcc
	s_orn2_b64 s[4:5], s[4:5], exec
	s_branch .LBB20_27
.LBB20_34:                              ;   in Loop: Header=BB20_15 Depth=1
	s_or_b64 exec, exec, s[18:19]
.LBB20_35:                              ;   in Loop: Header=BB20_15 Depth=1
	s_or_b64 exec, exec, s[12:13]
	s_waitcnt lgkmcnt(0)
	ds_read_u8 v23, v37
	s_waitcnt lgkmcnt(0)
	v_and_b32_e32 v24, 1, v23
	v_cmp_eq_u32_e64 s[4:5], 1, v24
	v_cmp_ne_u16_e32 vcc, 0, v23
	s_and_saveexec_b64 s[12:13], s[4:5]
	s_cbranch_execz .LBB20_14
; %bb.36:                               ;   in Loop: Header=BB20_15 Depth=1
	v_lshlrev_b64 v[23:24], 4, v[17:18]
	v_mov_b32_e32 v25, s7
	v_add_co_u32_e64 v27, s[4:5], s6, v23
	v_and_b32_e32 v23, vcc_lo, v31
	v_bcnt_u32_b32 v23, v23, 0
	v_addc_co_u32_e64 v41, s[4:5], v25, v24, s[4:5]
	v_lshlrev_b32_e32 v40, 4, v23
	ds_read2_b64 v[23:26], v4 offset1:1
	v_add_co_u32_e64 v40, s[4:5], v27, v40
	v_addc_co_u32_e64 v41, s[4:5], 0, v41, s[4:5]
	s_waitcnt lgkmcnt(0)
	global_store_dwordx4 v[40:41], v[23:26], off offset:-16
	s_branch .LBB20_14
.LBB20_37:
	s_endpgm
	.section	.rodata,"a",@progbits
	.p2align	6, 0x0
	.amdhsa_kernel _ZN9rocsparseL37csrgeam_fill_numeric_multipass_kernelILj256ELj32Eli21rocsparse_complex_numIdEEEvllNS_24const_host_device_scalarIT3_EEPKT1_PKT2_PKS4_S5_S8_SB_SD_S8_PS4_21rocsparse_index_base_SF_SF_bbb
		.amdhsa_group_segment_fixed_size 4352
		.amdhsa_private_segment_fixed_size 24
		.amdhsa_kernarg_size 128
		.amdhsa_user_sgpr_count 8
		.amdhsa_user_sgpr_private_segment_buffer 1
		.amdhsa_user_sgpr_dispatch_ptr 0
		.amdhsa_user_sgpr_queue_ptr 0
		.amdhsa_user_sgpr_kernarg_segment_ptr 1
		.amdhsa_user_sgpr_dispatch_id 0
		.amdhsa_user_sgpr_flat_scratch_init 1
		.amdhsa_user_sgpr_private_segment_size 0
		.amdhsa_uses_dynamic_stack 0
		.amdhsa_system_sgpr_private_segment_wavefront_offset 1
		.amdhsa_system_sgpr_workgroup_id_x 1
		.amdhsa_system_sgpr_workgroup_id_y 0
		.amdhsa_system_sgpr_workgroup_id_z 0
		.amdhsa_system_sgpr_workgroup_info 0
		.amdhsa_system_vgpr_workitem_id 0
		.amdhsa_next_free_vgpr 50
		.amdhsa_next_free_sgpr 32
		.amdhsa_reserve_vcc 1
		.amdhsa_reserve_flat_scratch 1
		.amdhsa_float_round_mode_32 0
		.amdhsa_float_round_mode_16_64 0
		.amdhsa_float_denorm_mode_32 3
		.amdhsa_float_denorm_mode_16_64 3
		.amdhsa_dx10_clamp 1
		.amdhsa_ieee_mode 1
		.amdhsa_fp16_overflow 0
		.amdhsa_exception_fp_ieee_invalid_op 0
		.amdhsa_exception_fp_denorm_src 0
		.amdhsa_exception_fp_ieee_div_zero 0
		.amdhsa_exception_fp_ieee_overflow 0
		.amdhsa_exception_fp_ieee_underflow 0
		.amdhsa_exception_fp_ieee_inexact 0
		.amdhsa_exception_int_div_zero 0
	.end_amdhsa_kernel
	.section	.text._ZN9rocsparseL37csrgeam_fill_numeric_multipass_kernelILj256ELj32Eli21rocsparse_complex_numIdEEEvllNS_24const_host_device_scalarIT3_EEPKT1_PKT2_PKS4_S5_S8_SB_SD_S8_PS4_21rocsparse_index_base_SF_SF_bbb,"axG",@progbits,_ZN9rocsparseL37csrgeam_fill_numeric_multipass_kernelILj256ELj32Eli21rocsparse_complex_numIdEEEvllNS_24const_host_device_scalarIT3_EEPKT1_PKT2_PKS4_S5_S8_SB_SD_S8_PS4_21rocsparse_index_base_SF_SF_bbb,comdat
.Lfunc_end20:
	.size	_ZN9rocsparseL37csrgeam_fill_numeric_multipass_kernelILj256ELj32Eli21rocsparse_complex_numIdEEEvllNS_24const_host_device_scalarIT3_EEPKT1_PKT2_PKS4_S5_S8_SB_SD_S8_PS4_21rocsparse_index_base_SF_SF_bbb, .Lfunc_end20-_ZN9rocsparseL37csrgeam_fill_numeric_multipass_kernelILj256ELj32Eli21rocsparse_complex_numIdEEEvllNS_24const_host_device_scalarIT3_EEPKT1_PKT2_PKS4_S5_S8_SB_SD_S8_PS4_21rocsparse_index_base_SF_SF_bbb
                                        ; -- End function
	.set _ZN9rocsparseL37csrgeam_fill_numeric_multipass_kernelILj256ELj32Eli21rocsparse_complex_numIdEEEvllNS_24const_host_device_scalarIT3_EEPKT1_PKT2_PKS4_S5_S8_SB_SD_S8_PS4_21rocsparse_index_base_SF_SF_bbb.num_vgpr, 50
	.set _ZN9rocsparseL37csrgeam_fill_numeric_multipass_kernelILj256ELj32Eli21rocsparse_complex_numIdEEEvllNS_24const_host_device_scalarIT3_EEPKT1_PKT2_PKS4_S5_S8_SB_SD_S8_PS4_21rocsparse_index_base_SF_SF_bbb.num_agpr, 0
	.set _ZN9rocsparseL37csrgeam_fill_numeric_multipass_kernelILj256ELj32Eli21rocsparse_complex_numIdEEEvllNS_24const_host_device_scalarIT3_EEPKT1_PKT2_PKS4_S5_S8_SB_SD_S8_PS4_21rocsparse_index_base_SF_SF_bbb.numbered_sgpr, 32
	.set _ZN9rocsparseL37csrgeam_fill_numeric_multipass_kernelILj256ELj32Eli21rocsparse_complex_numIdEEEvllNS_24const_host_device_scalarIT3_EEPKT1_PKT2_PKS4_S5_S8_SB_SD_S8_PS4_21rocsparse_index_base_SF_SF_bbb.num_named_barrier, 0
	.set _ZN9rocsparseL37csrgeam_fill_numeric_multipass_kernelILj256ELj32Eli21rocsparse_complex_numIdEEEvllNS_24const_host_device_scalarIT3_EEPKT1_PKT2_PKS4_S5_S8_SB_SD_S8_PS4_21rocsparse_index_base_SF_SF_bbb.private_seg_size, 24
	.set _ZN9rocsparseL37csrgeam_fill_numeric_multipass_kernelILj256ELj32Eli21rocsparse_complex_numIdEEEvllNS_24const_host_device_scalarIT3_EEPKT1_PKT2_PKS4_S5_S8_SB_SD_S8_PS4_21rocsparse_index_base_SF_SF_bbb.uses_vcc, 1
	.set _ZN9rocsparseL37csrgeam_fill_numeric_multipass_kernelILj256ELj32Eli21rocsparse_complex_numIdEEEvllNS_24const_host_device_scalarIT3_EEPKT1_PKT2_PKS4_S5_S8_SB_SD_S8_PS4_21rocsparse_index_base_SF_SF_bbb.uses_flat_scratch, 1
	.set _ZN9rocsparseL37csrgeam_fill_numeric_multipass_kernelILj256ELj32Eli21rocsparse_complex_numIdEEEvllNS_24const_host_device_scalarIT3_EEPKT1_PKT2_PKS4_S5_S8_SB_SD_S8_PS4_21rocsparse_index_base_SF_SF_bbb.has_dyn_sized_stack, 0
	.set _ZN9rocsparseL37csrgeam_fill_numeric_multipass_kernelILj256ELj32Eli21rocsparse_complex_numIdEEEvllNS_24const_host_device_scalarIT3_EEPKT1_PKT2_PKS4_S5_S8_SB_SD_S8_PS4_21rocsparse_index_base_SF_SF_bbb.has_recursion, 0
	.set _ZN9rocsparseL37csrgeam_fill_numeric_multipass_kernelILj256ELj32Eli21rocsparse_complex_numIdEEEvllNS_24const_host_device_scalarIT3_EEPKT1_PKT2_PKS4_S5_S8_SB_SD_S8_PS4_21rocsparse_index_base_SF_SF_bbb.has_indirect_call, 0
	.section	.AMDGPU.csdata,"",@progbits
; Kernel info:
; codeLenInByte = 1756
; TotalNumSgprs: 38
; NumVgprs: 50
; ScratchSize: 24
; MemoryBound: 0
; FloatMode: 240
; IeeeMode: 1
; LDSByteSize: 4352 bytes/workgroup (compile time only)
; SGPRBlocks: 4
; VGPRBlocks: 12
; NumSGPRsForWavesPerEU: 38
; NumVGPRsForWavesPerEU: 50
; Occupancy: 4
; WaveLimiterHint : 1
; COMPUTE_PGM_RSRC2:SCRATCH_EN: 1
; COMPUTE_PGM_RSRC2:USER_SGPR: 8
; COMPUTE_PGM_RSRC2:TRAP_HANDLER: 0
; COMPUTE_PGM_RSRC2:TGID_X_EN: 1
; COMPUTE_PGM_RSRC2:TGID_Y_EN: 0
; COMPUTE_PGM_RSRC2:TGID_Z_EN: 0
; COMPUTE_PGM_RSRC2:TIDIG_COMP_CNT: 0
	.section	.text._ZN9rocsparseL37csrgeam_fill_numeric_multipass_kernelILj256ELj64Eli21rocsparse_complex_numIdEEEvllNS_24const_host_device_scalarIT3_EEPKT1_PKT2_PKS4_S5_S8_SB_SD_S8_PS4_21rocsparse_index_base_SF_SF_bbb,"axG",@progbits,_ZN9rocsparseL37csrgeam_fill_numeric_multipass_kernelILj256ELj64Eli21rocsparse_complex_numIdEEEvllNS_24const_host_device_scalarIT3_EEPKT1_PKT2_PKS4_S5_S8_SB_SD_S8_PS4_21rocsparse_index_base_SF_SF_bbb,comdat
	.globl	_ZN9rocsparseL37csrgeam_fill_numeric_multipass_kernelILj256ELj64Eli21rocsparse_complex_numIdEEEvllNS_24const_host_device_scalarIT3_EEPKT1_PKT2_PKS4_S5_S8_SB_SD_S8_PS4_21rocsparse_index_base_SF_SF_bbb ; -- Begin function _ZN9rocsparseL37csrgeam_fill_numeric_multipass_kernelILj256ELj64Eli21rocsparse_complex_numIdEEEvllNS_24const_host_device_scalarIT3_EEPKT1_PKT2_PKS4_S5_S8_SB_SD_S8_PS4_21rocsparse_index_base_SF_SF_bbb
	.p2align	8
	.type	_ZN9rocsparseL37csrgeam_fill_numeric_multipass_kernelILj256ELj64Eli21rocsparse_complex_numIdEEEvllNS_24const_host_device_scalarIT3_EEPKT1_PKT2_PKS4_S5_S8_SB_SD_S8_PS4_21rocsparse_index_base_SF_SF_bbb,@function
_ZN9rocsparseL37csrgeam_fill_numeric_multipass_kernelILj256ELj64Eli21rocsparse_complex_numIdEEEvllNS_24const_host_device_scalarIT3_EEPKT1_PKT2_PKS4_S5_S8_SB_SD_S8_PS4_21rocsparse_index_base_SF_SF_bbb: ; @_ZN9rocsparseL37csrgeam_fill_numeric_multipass_kernelILj256ELj64Eli21rocsparse_complex_numIdEEEvllNS_24const_host_device_scalarIT3_EEPKT1_PKT2_PKS4_S5_S8_SB_SD_S8_PS4_21rocsparse_index_base_SF_SF_bbb
; %bb.0:
	s_add_u32 flat_scratch_lo, s6, s9
	s_addc_u32 flat_scratch_hi, s7, 0
	s_add_u32 s0, s0, s9
	s_load_dword s9, s[4:5], 0x7c
	s_load_dwordx8 s[12:19], s[4:5], 0x0
	s_load_dwordx4 s[24:27], s[4:5], 0x38
	s_load_dwordx4 s[20:23], s[4:5], 0x70
	s_addc_u32 s1, s1, 0
	s_waitcnt lgkmcnt(0)
	s_bitcmp1_b32 s9, 16
	v_mov_b32_e32 v1, s17
	buffer_store_dword v1, off, s[0:3], 0 offset:4
	v_mov_b32_e32 v1, s16
	s_cselect_b64 s[10:11], -1, 0
	buffer_store_dword v1, off, s[0:3], 0
	v_mov_b32_e32 v1, s25
	s_xor_b64 s[6:7], s[10:11], -1
	buffer_store_dword v1, off, s[0:3], 0 offset:12
	v_mov_b32_e32 v1, s24
	buffer_store_dword v1, off, s[0:3], 0 offset:8
	v_mov_b32_e32 v11, 0
	v_cndmask_b32_e64 v1, 0, 1, s[6:7]
	v_mov_b32_e32 v9, 0
	v_mov_b32_e32 v13, 0
	;; [unrolled: 1-line block ×3, first 2 shown]
	s_bitcmp0_b32 s23, 0
	v_mov_b32_e32 v10, 0
	v_mov_b32_e32 v14, 0
	v_cmp_ne_u32_e64 s[6:7], 1, v1
	s_cbranch_scc1 .LBB21_3
; %bb.1:
	s_mov_b64 s[28:29], src_private_base
	s_and_b64 s[30:31], s[10:11], exec
	s_cselect_b32 s23, s29, s17
	s_cselect_b32 s28, 0, s16
	v_mov_b32_e32 v1, s28
	v_mov_b32_e32 v2, s23
	flat_load_dwordx2 v[9:10], v[1:2]
	v_mov_b32_e32 v13, s18
	s_and_b64 vcc, exec, s[6:7]
	v_mov_b32_e32 v14, s19
	s_cbranch_vccnz .LBB21_3
; %bb.2:
	v_mov_b32_e32 v1, s16
	v_mov_b32_e32 v2, s17
	flat_load_dwordx2 v[13:14], v[1:2] offset:8
.LBB21_3:
	s_bfe_u32 s9, s9, 0x10008
	v_mov_b32_e32 v15, 0
	s_cmp_eq_u32 s9, 0
	v_mov_b32_e32 v16, 0
	s_cbranch_scc1 .LBB21_6
; %bb.4:
	s_mov_b64 s[16:17], src_private_base
	s_and_b64 s[10:11], s[10:11], exec
	s_cselect_b32 s9, s17, s25
	s_cselect_b32 s10, 8, s24
	v_mov_b32_e32 v1, s10
	v_mov_b32_e32 v2, s9
	flat_load_dwordx2 v[15:16], v[1:2]
	v_mov_b32_e32 v11, s26
	s_and_b64 vcc, exec, s[6:7]
	v_mov_b32_e32 v12, s27
	s_cbranch_vccnz .LBB21_6
; %bb.5:
	v_mov_b32_e32 v1, s24
	v_mov_b32_e32 v2, s25
	flat_load_dwordx2 v[11:12], v[1:2] offset:8
.LBB21_6:
	s_lshl_b32 s6, s8, 2
	v_lshrrev_b32_e32 v1, 6, v0
	s_and_b32 s6, s6, 0x3fffffc
	v_or_b32_e32 v1, s6, v1
	v_mov_b32_e32 v2, 0
	v_cmp_gt_i64_e32 vcc, s[12:13], v[1:2]
	s_and_saveexec_b64 s[6:7], vcc
	s_cbranch_execz .LBB21_37
; %bb.7:
	s_load_dwordx4 s[8:11], s[4:5], 0x20
	s_load_dwordx2 s[6:7], s[4:5], 0x48
	s_load_dwordx2 s[12:13], s[4:5], 0x60
	v_lshlrev_b32_e32 v19, 3, v1
	s_waitcnt lgkmcnt(0)
	global_load_dwordx4 v[1:4], v19, s[8:9]
	global_load_dwordx4 v[5:8], v19, s[6:7]
	global_load_dwordx2 v[17:18], v19, s[12:13]
	s_waitcnt vmcnt(0)
	v_cmp_ge_i64_e32 vcc, v[1:2], v[3:4]
	v_subrev_co_u32_e64 v1, s[6:7], s20, v1
	v_subbrev_co_u32_e64 v2, s[6:7], 0, v2, s[6:7]
	s_and_saveexec_b64 s[6:7], vcc
	s_xor_b64 s[6:7], exec, s[6:7]
	s_or_saveexec_b64 s[6:7], s[6:7]
	v_mov_b32_e32 v19, s14
	s_xor_b64 exec, exec, s[6:7]
	s_cbranch_execz .LBB21_9
; %bb.8:
	v_lshlrev_b64 v[19:20], 2, v[1:2]
	v_mov_b32_e32 v21, s11
	v_add_co_u32_e32 v19, vcc, s10, v19
	v_addc_co_u32_e32 v20, vcc, v21, v20, vcc
	global_load_dword v19, v[19:20], off
	s_waitcnt vmcnt(0)
	v_subrev_u32_e32 v19, s20, v19
.LBB21_9:
	s_or_b64 exec, exec, s[6:7]
	s_load_dwordx4 s[16:19], s[4:5], 0x50
	s_load_dwordx2 s[8:9], s[4:5], 0x30
	v_subrev_co_u32_e32 v21, vcc, s21, v5
	v_subbrev_co_u32_e32 v22, vcc, 0, v6, vcc
	v_cmp_ge_i64_e32 vcc, v[5:6], v[7:8]
	s_mov_b32 s23, s21
	v_mov_b32_e32 v31, s14
	s_and_saveexec_b64 s[6:7], vcc
	s_xor_b64 s[6:7], exec, s[6:7]
; %bb.10:
	v_mov_b32_e32 v31, s14
; %bb.11:
	s_or_saveexec_b64 s[12:13], s[6:7]
	s_load_dwordx2 s[6:7], s[4:5], 0x68
	v_mov_b32_e32 v20, v31
	s_xor_b64 exec, exec, s[12:13]
	s_cbranch_execz .LBB21_13
; %bb.12:
	v_lshlrev_b64 v[5:6], 2, v[21:22]
	s_waitcnt lgkmcnt(0)
	v_mov_b32_e32 v20, s17
	v_add_co_u32_e32 v5, vcc, s16, v5
	v_addc_co_u32_e32 v6, vcc, v20, v6, vcc
	global_load_dword v5, v[5:6], off
	s_waitcnt vmcnt(0)
	v_subrev_u32_e32 v20, s21, v5
.LBB21_13:
	s_or_b64 exec, exec, s[12:13]
	v_and_b32_e32 v5, 0xc0, v0
	v_or_b32_e32 v32, 0x1000, v5
	v_lshlrev_b32_e32 v33, 4, v5
	v_subrev_co_u32_e32 v5, vcc, s20, v3
	v_subbrev_co_u32_e32 v6, vcc, 0, v4, vcc
	v_subrev_co_u32_e32 v7, vcc, s23, v7
	v_subbrev_co_u32_e32 v8, vcc, 0, v8, vcc
	;; [unrolled: 2-line block ×3, first 2 shown]
	v_and_b32_e32 v0, 63, v0
	v_min_i32_e32 v23, v20, v19
	v_add_co_u32_e32 v19, vcc, v1, v0
	v_mbcnt_lo_u32_b32 v1, -1, 0
	v_addc_co_u32_e32 v20, vcc, 0, v2, vcc
	v_mbcnt_hi_u32_b32 v1, -1, v1
	v_add_co_u32_e32 v21, vcc, v21, v0
	v_and_b32_e32 v2, 64, v1
	v_addc_co_u32_e32 v22, vcc, 0, v22, vcc
	v_add_u32_e32 v2, 64, v2
	v_xor_b32_e32 v3, 32, v1
	v_xor_b32_e32 v24, 16, v1
	v_cmp_lt_i32_e32 vcc, v3, v2
	v_xor_b32_e32 v25, 8, v1
	v_cndmask_b32_e32 v3, v1, v3, vcc
	v_cmp_lt_i32_e32 vcc, v24, v2
	v_xor_b32_e32 v26, 4, v1
	v_lshlrev_b32_e32 v34, 2, v3
	v_cndmask_b32_e32 v3, v1, v24, vcc
	v_cmp_lt_i32_e32 vcc, v25, v2
	v_xor_b32_e32 v27, 2, v1
	v_lshlrev_b32_e32 v35, 2, v3
	;; [unrolled: 4-line block ×3, first 2 shown]
	v_cndmask_b32_e32 v3, v1, v26, vcc
	v_cmp_lt_i32_e32 vcc, v27, v2
	s_waitcnt lgkmcnt(0)
	s_add_u32 s24, s8, 8
	v_xor_b32_e32 v29, 63, v0
	v_lshlrev_b32_e32 v37, 2, v3
	v_cndmask_b32_e32 v3, v1, v27, vcc
	v_cmp_lt_i32_e32 vcc, v28, v2
	s_addc_u32 s25, s9, 0
	v_lshl_or_b32 v4, v0, 4, v33
	v_cndmask_b32_e32 v1, v1, v28, vcc
	s_add_u32 s26, s18, 8
	v_add_u32_e32 v40, v32, v0
	v_mov_b32_e32 v0, 0
	v_lshrrev_b64 v[25:26], v29, -1
	v_lshlrev_b32_e32 v38, 2, v3
	v_lshlrev_b32_e32 v39, 2, v1
	s_addc_u32 s27, s19, 0
	s_mov_b64 s[8:9], 0
	v_mov_b32_e32 v1, v0
	v_mov_b32_e32 v2, v0
	;; [unrolled: 1-line block ×4, first 2 shown]
	s_branch .LBB21_15
.LBB21_14:                              ;   in Loop: Header=BB21_15 Depth=1
	s_or_b64 exec, exec, s[12:13]
	ds_bpermute_b32 v23, v34, v24
	s_bcnt1_i32_b64 s12, vcc
	v_add_co_u32_e32 v17, vcc, s12, v17
	v_addc_co_u32_e32 v18, vcc, 0, v18, vcc
	s_waitcnt lgkmcnt(0)
	v_min_i32_e32 v23, v23, v24
	ds_bpermute_b32 v24, v35, v23
	s_waitcnt lgkmcnt(0)
	v_min_i32_e32 v23, v24, v23
	ds_bpermute_b32 v24, v36, v23
	;; [unrolled: 3-line block ×5, first 2 shown]
	s_waitcnt lgkmcnt(0)
	v_min_i32_e32 v23, v24, v23
	v_ashrrev_i32_e32 v24, 31, v23
	v_cmp_le_i64_e64 s[4:5], s[14:15], v[23:24]
	s_or_b64 s[8:9], s[4:5], s[8:9]
	s_andn2_b64 exec, exec, s[8:9]
	s_cbranch_execz .LBB21_37
.LBB21_15:                              ; =>This Loop Header: Depth=1
                                        ;     Child Loop BB21_18 Depth 2
                                        ;     Child Loop BB21_28 Depth 2
	v_cmp_lt_i64_e32 vcc, v[19:20], v[5:6]
	v_mov_b32_e32 v24, v31
	ds_write_b8 v40, v0
	ds_write_b128 v4, v[0:3]
	s_waitcnt lgkmcnt(0)
	s_and_saveexec_b64 s[12:13], vcc
	s_cbranch_execz .LBB21_25
; %bb.16:                               ;   in Loop: Header=BB21_15 Depth=1
	v_lshlrev_b64 v[27:28], 2, v[19:20]
	v_mov_b32_e32 v24, s11
	v_add_co_u32_e32 v27, vcc, s10, v27
	v_lshlrev_b64 v[29:30], 4, v[19:20]
	v_addc_co_u32_e32 v28, vcc, v24, v28, vcc
	v_mov_b32_e32 v24, s25
	v_add_co_u32_e32 v29, vcc, s24, v29
	v_addc_co_u32_e32 v30, vcc, v24, v30, vcc
	s_mov_b64 s[18:19], 0
	v_mov_b32_e32 v24, v31
	s_branch .LBB21_18
.LBB21_17:                              ;   in Loop: Header=BB21_18 Depth=2
	s_or_b64 exec, exec, s[22:23]
	s_and_b64 s[4:5], exec, s[4:5]
	s_or_b64 s[18:19], s[4:5], s[18:19]
	s_andn2_b64 exec, exec, s[18:19]
	s_cbranch_execz .LBB21_24
.LBB21_18:                              ;   Parent Loop BB21_15 Depth=1
                                        ; =>  This Inner Loop Header: Depth=2
	global_load_dword v42, v[27:28], off
	s_waitcnt vmcnt(0)
	v_subrev_u32_e32 v43, s20, v42
	v_sub_u32_e32 v42, v43, v23
	v_cmp_gt_u32_e32 vcc, 64, v42
	v_cmp_lt_u32_e64 s[4:5], 63, v42
	s_and_saveexec_b64 s[22:23], s[4:5]
	s_xor_b64 s[4:5], exec, s[22:23]
	s_cbranch_execnz .LBB21_21
; %bb.19:                               ;   in Loop: Header=BB21_18 Depth=2
	s_andn2_saveexec_b64 s[4:5], s[4:5]
	s_cbranch_execnz .LBB21_22
.LBB21_20:                              ;   in Loop: Header=BB21_18 Depth=2
	s_or_b64 exec, exec, s[4:5]
	s_mov_b64 s[4:5], -1
	s_and_saveexec_b64 s[22:23], vcc
	s_cbranch_execz .LBB21_17
	s_branch .LBB21_23
.LBB21_21:                              ;   in Loop: Header=BB21_18 Depth=2
	v_min_i32_e32 v24, v43, v24
                                        ; implicit-def: $vgpr42
	s_andn2_saveexec_b64 s[4:5], s[4:5]
	s_cbranch_execz .LBB21_20
.LBB21_22:                              ;   in Loop: Header=BB21_18 Depth=2
	global_load_dwordx4 v[43:46], v[29:30], off offset:-8
	s_waitcnt vmcnt(0)
	v_mul_f64 v[47:48], v[45:46], -v[13:14]
	v_mul_f64 v[49:50], v[9:10], v[45:46]
	v_fma_f64 v[45:46], v[9:10], v[43:44], v[47:48]
	v_fma_f64 v[47:48], v[13:14], v[43:44], v[49:50]
	v_add_u32_e32 v43, v32, v42
	v_lshl_add_u32 v42, v42, 4, v33
	ds_write_b8 v43, v41
	ds_write_b128 v42, v[45:48]
	s_or_b64 exec, exec, s[4:5]
	s_mov_b64 s[4:5], -1
	s_and_saveexec_b64 s[22:23], vcc
	s_cbranch_execz .LBB21_17
.LBB21_23:                              ;   in Loop: Header=BB21_18 Depth=2
	v_add_co_u32_e32 v19, vcc, 64, v19
	v_addc_co_u32_e32 v20, vcc, 0, v20, vcc
	v_add_co_u32_e32 v27, vcc, 0x100, v27
	v_addc_co_u32_e32 v28, vcc, 0, v28, vcc
	v_cmp_ge_i64_e64 s[4:5], v[19:20], v[5:6]
	v_add_co_u32_e32 v29, vcc, 0x400, v29
	v_addc_co_u32_e32 v30, vcc, 0, v30, vcc
	s_orn2_b64 s[4:5], s[4:5], exec
	s_branch .LBB21_17
.LBB21_24:                              ;   in Loop: Header=BB21_15 Depth=1
	s_or_b64 exec, exec, s[18:19]
.LBB21_25:                              ;   in Loop: Header=BB21_15 Depth=1
	s_or_b64 exec, exec, s[12:13]
	v_cmp_lt_i64_e32 vcc, v[21:22], v[7:8]
	s_waitcnt lgkmcnt(0)
	s_and_saveexec_b64 s[12:13], vcc
	s_cbranch_execz .LBB21_35
; %bb.26:                               ;   in Loop: Header=BB21_15 Depth=1
	v_lshlrev_b64 v[27:28], 2, v[21:22]
	v_mov_b32_e32 v29, s17
	v_add_co_u32_e32 v27, vcc, s16, v27
	v_addc_co_u32_e32 v28, vcc, v29, v28, vcc
	v_lshlrev_b64 v[29:30], 4, v[21:22]
	v_mov_b32_e32 v42, s27
	v_add_co_u32_e32 v29, vcc, s26, v29
	v_addc_co_u32_e32 v30, vcc, v42, v30, vcc
	s_mov_b64 s[18:19], 0
	s_branch .LBB21_28
.LBB21_27:                              ;   in Loop: Header=BB21_28 Depth=2
	s_or_b64 exec, exec, s[22:23]
	s_and_b64 s[4:5], exec, s[4:5]
	s_or_b64 s[18:19], s[4:5], s[18:19]
	s_andn2_b64 exec, exec, s[18:19]
	s_cbranch_execz .LBB21_34
.LBB21_28:                              ;   Parent Loop BB21_15 Depth=1
                                        ; =>  This Inner Loop Header: Depth=2
	global_load_dword v42, v[27:28], off
	s_waitcnt vmcnt(0)
	v_subrev_u32_e32 v43, s21, v42
	v_sub_u32_e32 v42, v43, v23
	v_cmp_gt_u32_e32 vcc, 64, v42
	v_cmp_lt_u32_e64 s[4:5], 63, v42
	s_and_saveexec_b64 s[22:23], s[4:5]
	s_xor_b64 s[4:5], exec, s[22:23]
	s_cbranch_execnz .LBB21_31
; %bb.29:                               ;   in Loop: Header=BB21_28 Depth=2
	s_andn2_saveexec_b64 s[4:5], s[4:5]
	s_cbranch_execnz .LBB21_32
.LBB21_30:                              ;   in Loop: Header=BB21_28 Depth=2
	s_or_b64 exec, exec, s[4:5]
	s_mov_b64 s[4:5], -1
	s_and_saveexec_b64 s[22:23], vcc
	s_cbranch_execz .LBB21_27
	s_branch .LBB21_33
.LBB21_31:                              ;   in Loop: Header=BB21_28 Depth=2
	v_min_i32_e32 v24, v43, v24
                                        ; implicit-def: $vgpr42
	s_andn2_saveexec_b64 s[4:5], s[4:5]
	s_cbranch_execz .LBB21_30
.LBB21_32:                              ;   in Loop: Header=BB21_28 Depth=2
	global_load_dwordx4 v[43:46], v[29:30], off offset:-8
	v_lshl_add_u32 v51, v42, 4, v33
	ds_read_b128 v[47:50], v51
	v_add_u32_e32 v42, v32, v42
	s_waitcnt vmcnt(0) lgkmcnt(0)
	v_fma_f64 v[47:48], v[15:16], v[43:44], v[47:48]
	v_fma_f64 v[49:50], v[11:12], v[43:44], v[49:50]
	v_fma_f64 v[43:44], -v[11:12], v[45:46], v[47:48]
	v_fma_f64 v[45:46], v[15:16], v[45:46], v[49:50]
	ds_write_b8 v42, v41
	ds_write_b128 v51, v[43:46]
	s_or_b64 exec, exec, s[4:5]
	s_mov_b64 s[4:5], -1
	s_and_saveexec_b64 s[22:23], vcc
	s_cbranch_execz .LBB21_27
.LBB21_33:                              ;   in Loop: Header=BB21_28 Depth=2
	v_add_co_u32_e32 v21, vcc, 64, v21
	v_addc_co_u32_e32 v22, vcc, 0, v22, vcc
	v_add_co_u32_e32 v27, vcc, 0x100, v27
	v_addc_co_u32_e32 v28, vcc, 0, v28, vcc
	v_cmp_ge_i64_e64 s[4:5], v[21:22], v[7:8]
	v_add_co_u32_e32 v29, vcc, 0x400, v29
	v_addc_co_u32_e32 v30, vcc, 0, v30, vcc
	s_orn2_b64 s[4:5], s[4:5], exec
	s_branch .LBB21_27
.LBB21_34:                              ;   in Loop: Header=BB21_15 Depth=1
	s_or_b64 exec, exec, s[18:19]
.LBB21_35:                              ;   in Loop: Header=BB21_15 Depth=1
	s_or_b64 exec, exec, s[12:13]
	s_waitcnt lgkmcnt(0)
	ds_read_u8 v23, v40
	s_waitcnt lgkmcnt(0)
	v_and_b32_e32 v27, 1, v23
	v_cmp_eq_u32_e64 s[4:5], 1, v27
	v_cmp_ne_u16_e32 vcc, 0, v23
	s_and_saveexec_b64 s[12:13], s[4:5]
	s_cbranch_execz .LBB21_14
; %bb.36:                               ;   in Loop: Header=BB21_15 Depth=1
	v_lshlrev_b64 v[27:28], 4, v[17:18]
	v_mov_b32_e32 v23, s7
	v_add_co_u32_e64 v42, s[4:5], s6, v27
	v_addc_co_u32_e64 v23, s[4:5], v23, v28, s[4:5]
	v_and_b32_e32 v28, vcc_lo, v25
	v_and_b32_e32 v27, vcc_hi, v26
	v_bcnt_u32_b32 v28, v28, 0
	v_bcnt_u32_b32 v27, v27, v28
	v_lshlrev_b32_e32 v43, 4, v27
	ds_read2_b64 v[27:30], v4 offset1:1
	v_add_co_u32_e64 v42, s[4:5], v42, v43
	v_addc_co_u32_e64 v43, s[4:5], 0, v23, s[4:5]
	s_waitcnt lgkmcnt(0)
	global_store_dwordx4 v[42:43], v[27:30], off offset:-16
	s_branch .LBB21_14
.LBB21_37:
	s_endpgm
	.section	.rodata,"a",@progbits
	.p2align	6, 0x0
	.amdhsa_kernel _ZN9rocsparseL37csrgeam_fill_numeric_multipass_kernelILj256ELj64Eli21rocsparse_complex_numIdEEEvllNS_24const_host_device_scalarIT3_EEPKT1_PKT2_PKS4_S5_S8_SB_SD_S8_PS4_21rocsparse_index_base_SF_SF_bbb
		.amdhsa_group_segment_fixed_size 4352
		.amdhsa_private_segment_fixed_size 24
		.amdhsa_kernarg_size 128
		.amdhsa_user_sgpr_count 8
		.amdhsa_user_sgpr_private_segment_buffer 1
		.amdhsa_user_sgpr_dispatch_ptr 0
		.amdhsa_user_sgpr_queue_ptr 0
		.amdhsa_user_sgpr_kernarg_segment_ptr 1
		.amdhsa_user_sgpr_dispatch_id 0
		.amdhsa_user_sgpr_flat_scratch_init 1
		.amdhsa_user_sgpr_private_segment_size 0
		.amdhsa_uses_dynamic_stack 0
		.amdhsa_system_sgpr_private_segment_wavefront_offset 1
		.amdhsa_system_sgpr_workgroup_id_x 1
		.amdhsa_system_sgpr_workgroup_id_y 0
		.amdhsa_system_sgpr_workgroup_id_z 0
		.amdhsa_system_sgpr_workgroup_info 0
		.amdhsa_system_vgpr_workitem_id 0
		.amdhsa_next_free_vgpr 52
		.amdhsa_next_free_sgpr 32
		.amdhsa_reserve_vcc 1
		.amdhsa_reserve_flat_scratch 1
		.amdhsa_float_round_mode_32 0
		.amdhsa_float_round_mode_16_64 0
		.amdhsa_float_denorm_mode_32 3
		.amdhsa_float_denorm_mode_16_64 3
		.amdhsa_dx10_clamp 1
		.amdhsa_ieee_mode 1
		.amdhsa_fp16_overflow 0
		.amdhsa_exception_fp_ieee_invalid_op 0
		.amdhsa_exception_fp_denorm_src 0
		.amdhsa_exception_fp_ieee_div_zero 0
		.amdhsa_exception_fp_ieee_overflow 0
		.amdhsa_exception_fp_ieee_underflow 0
		.amdhsa_exception_fp_ieee_inexact 0
		.amdhsa_exception_int_div_zero 0
	.end_amdhsa_kernel
	.section	.text._ZN9rocsparseL37csrgeam_fill_numeric_multipass_kernelILj256ELj64Eli21rocsparse_complex_numIdEEEvllNS_24const_host_device_scalarIT3_EEPKT1_PKT2_PKS4_S5_S8_SB_SD_S8_PS4_21rocsparse_index_base_SF_SF_bbb,"axG",@progbits,_ZN9rocsparseL37csrgeam_fill_numeric_multipass_kernelILj256ELj64Eli21rocsparse_complex_numIdEEEvllNS_24const_host_device_scalarIT3_EEPKT1_PKT2_PKS4_S5_S8_SB_SD_S8_PS4_21rocsparse_index_base_SF_SF_bbb,comdat
.Lfunc_end21:
	.size	_ZN9rocsparseL37csrgeam_fill_numeric_multipass_kernelILj256ELj64Eli21rocsparse_complex_numIdEEEvllNS_24const_host_device_scalarIT3_EEPKT1_PKT2_PKS4_S5_S8_SB_SD_S8_PS4_21rocsparse_index_base_SF_SF_bbb, .Lfunc_end21-_ZN9rocsparseL37csrgeam_fill_numeric_multipass_kernelILj256ELj64Eli21rocsparse_complex_numIdEEEvllNS_24const_host_device_scalarIT3_EEPKT1_PKT2_PKS4_S5_S8_SB_SD_S8_PS4_21rocsparse_index_base_SF_SF_bbb
                                        ; -- End function
	.set _ZN9rocsparseL37csrgeam_fill_numeric_multipass_kernelILj256ELj64Eli21rocsparse_complex_numIdEEEvllNS_24const_host_device_scalarIT3_EEPKT1_PKT2_PKS4_S5_S8_SB_SD_S8_PS4_21rocsparse_index_base_SF_SF_bbb.num_vgpr, 52
	.set _ZN9rocsparseL37csrgeam_fill_numeric_multipass_kernelILj256ELj64Eli21rocsparse_complex_numIdEEEvllNS_24const_host_device_scalarIT3_EEPKT1_PKT2_PKS4_S5_S8_SB_SD_S8_PS4_21rocsparse_index_base_SF_SF_bbb.num_agpr, 0
	.set _ZN9rocsparseL37csrgeam_fill_numeric_multipass_kernelILj256ELj64Eli21rocsparse_complex_numIdEEEvllNS_24const_host_device_scalarIT3_EEPKT1_PKT2_PKS4_S5_S8_SB_SD_S8_PS4_21rocsparse_index_base_SF_SF_bbb.numbered_sgpr, 32
	.set _ZN9rocsparseL37csrgeam_fill_numeric_multipass_kernelILj256ELj64Eli21rocsparse_complex_numIdEEEvllNS_24const_host_device_scalarIT3_EEPKT1_PKT2_PKS4_S5_S8_SB_SD_S8_PS4_21rocsparse_index_base_SF_SF_bbb.num_named_barrier, 0
	.set _ZN9rocsparseL37csrgeam_fill_numeric_multipass_kernelILj256ELj64Eli21rocsparse_complex_numIdEEEvllNS_24const_host_device_scalarIT3_EEPKT1_PKT2_PKS4_S5_S8_SB_SD_S8_PS4_21rocsparse_index_base_SF_SF_bbb.private_seg_size, 24
	.set _ZN9rocsparseL37csrgeam_fill_numeric_multipass_kernelILj256ELj64Eli21rocsparse_complex_numIdEEEvllNS_24const_host_device_scalarIT3_EEPKT1_PKT2_PKS4_S5_S8_SB_SD_S8_PS4_21rocsparse_index_base_SF_SF_bbb.uses_vcc, 1
	.set _ZN9rocsparseL37csrgeam_fill_numeric_multipass_kernelILj256ELj64Eli21rocsparse_complex_numIdEEEvllNS_24const_host_device_scalarIT3_EEPKT1_PKT2_PKS4_S5_S8_SB_SD_S8_PS4_21rocsparse_index_base_SF_SF_bbb.uses_flat_scratch, 1
	.set _ZN9rocsparseL37csrgeam_fill_numeric_multipass_kernelILj256ELj64Eli21rocsparse_complex_numIdEEEvllNS_24const_host_device_scalarIT3_EEPKT1_PKT2_PKS4_S5_S8_SB_SD_S8_PS4_21rocsparse_index_base_SF_SF_bbb.has_dyn_sized_stack, 0
	.set _ZN9rocsparseL37csrgeam_fill_numeric_multipass_kernelILj256ELj64Eli21rocsparse_complex_numIdEEEvllNS_24const_host_device_scalarIT3_EEPKT1_PKT2_PKS4_S5_S8_SB_SD_S8_PS4_21rocsparse_index_base_SF_SF_bbb.has_recursion, 0
	.set _ZN9rocsparseL37csrgeam_fill_numeric_multipass_kernelILj256ELj64Eli21rocsparse_complex_numIdEEEvllNS_24const_host_device_scalarIT3_EEPKT1_PKT2_PKS4_S5_S8_SB_SD_S8_PS4_21rocsparse_index_base_SF_SF_bbb.has_indirect_call, 0
	.section	.AMDGPU.csdata,"",@progbits
; Kernel info:
; codeLenInByte = 1800
; TotalNumSgprs: 38
; NumVgprs: 52
; ScratchSize: 24
; MemoryBound: 0
; FloatMode: 240
; IeeeMode: 1
; LDSByteSize: 4352 bytes/workgroup (compile time only)
; SGPRBlocks: 4
; VGPRBlocks: 12
; NumSGPRsForWavesPerEU: 38
; NumVGPRsForWavesPerEU: 52
; Occupancy: 4
; WaveLimiterHint : 1
; COMPUTE_PGM_RSRC2:SCRATCH_EN: 1
; COMPUTE_PGM_RSRC2:USER_SGPR: 8
; COMPUTE_PGM_RSRC2:TRAP_HANDLER: 0
; COMPUTE_PGM_RSRC2:TGID_X_EN: 1
; COMPUTE_PGM_RSRC2:TGID_Y_EN: 0
; COMPUTE_PGM_RSRC2:TGID_Z_EN: 0
; COMPUTE_PGM_RSRC2:TIDIG_COMP_CNT: 0
	.section	.text._ZN9rocsparseL37csrgeam_fill_numeric_multipass_kernelILj256ELj32Ell21rocsparse_complex_numIdEEEvllNS_24const_host_device_scalarIT3_EEPKT1_PKT2_PKS4_S5_S8_SB_SD_S8_PS4_21rocsparse_index_base_SF_SF_bbb,"axG",@progbits,_ZN9rocsparseL37csrgeam_fill_numeric_multipass_kernelILj256ELj32Ell21rocsparse_complex_numIdEEEvllNS_24const_host_device_scalarIT3_EEPKT1_PKT2_PKS4_S5_S8_SB_SD_S8_PS4_21rocsparse_index_base_SF_SF_bbb,comdat
	.globl	_ZN9rocsparseL37csrgeam_fill_numeric_multipass_kernelILj256ELj32Ell21rocsparse_complex_numIdEEEvllNS_24const_host_device_scalarIT3_EEPKT1_PKT2_PKS4_S5_S8_SB_SD_S8_PS4_21rocsparse_index_base_SF_SF_bbb ; -- Begin function _ZN9rocsparseL37csrgeam_fill_numeric_multipass_kernelILj256ELj32Ell21rocsparse_complex_numIdEEEvllNS_24const_host_device_scalarIT3_EEPKT1_PKT2_PKS4_S5_S8_SB_SD_S8_PS4_21rocsparse_index_base_SF_SF_bbb
	.p2align	8
	.type	_ZN9rocsparseL37csrgeam_fill_numeric_multipass_kernelILj256ELj32Ell21rocsparse_complex_numIdEEEvllNS_24const_host_device_scalarIT3_EEPKT1_PKT2_PKS4_S5_S8_SB_SD_S8_PS4_21rocsparse_index_base_SF_SF_bbb,@function
_ZN9rocsparseL37csrgeam_fill_numeric_multipass_kernelILj256ELj32Ell21rocsparse_complex_numIdEEEvllNS_24const_host_device_scalarIT3_EEPKT1_PKT2_PKS4_S5_S8_SB_SD_S8_PS4_21rocsparse_index_base_SF_SF_bbb: ; @_ZN9rocsparseL37csrgeam_fill_numeric_multipass_kernelILj256ELj32Ell21rocsparse_complex_numIdEEEvllNS_24const_host_device_scalarIT3_EEPKT1_PKT2_PKS4_S5_S8_SB_SD_S8_PS4_21rocsparse_index_base_SF_SF_bbb
; %bb.0:
	s_add_u32 flat_scratch_lo, s6, s9
	s_addc_u32 flat_scratch_hi, s7, 0
	s_add_u32 s0, s0, s9
	s_load_dword s9, s[4:5], 0x7c
	s_load_dwordx8 s[12:19], s[4:5], 0x0
	s_load_dwordx4 s[20:23], s[4:5], 0x38
	s_load_dwordx4 s[24:27], s[4:5], 0x70
	s_addc_u32 s1, s1, 0
	s_waitcnt lgkmcnt(0)
	s_bitcmp1_b32 s9, 16
	v_mov_b32_e32 v1, s17
	buffer_store_dword v1, off, s[0:3], 0 offset:4
	v_mov_b32_e32 v1, s16
	s_cselect_b64 s[10:11], -1, 0
	buffer_store_dword v1, off, s[0:3], 0
	v_mov_b32_e32 v1, s21
	s_xor_b64 s[6:7], s[10:11], -1
	buffer_store_dword v1, off, s[0:3], 0 offset:12
	v_mov_b32_e32 v1, s20
	buffer_store_dword v1, off, s[0:3], 0 offset:8
	v_mov_b32_e32 v11, 0
	v_cndmask_b32_e64 v1, 0, 1, s[6:7]
	v_mov_b32_e32 v9, 0
	v_mov_b32_e32 v13, 0
	;; [unrolled: 1-line block ×3, first 2 shown]
	s_bitcmp0_b32 s27, 0
	v_mov_b32_e32 v10, 0
	v_mov_b32_e32 v14, 0
	v_cmp_ne_u32_e64 s[6:7], 1, v1
	s_cbranch_scc1 .LBB22_3
; %bb.1:
	s_mov_b64 s[28:29], src_private_base
	s_and_b64 s[30:31], s[10:11], exec
	s_cselect_b32 s27, s29, s17
	s_cselect_b32 s28, 0, s16
	v_mov_b32_e32 v1, s28
	v_mov_b32_e32 v2, s27
	flat_load_dwordx2 v[9:10], v[1:2]
	v_mov_b32_e32 v13, s18
	s_and_b64 vcc, exec, s[6:7]
	v_mov_b32_e32 v14, s19
	s_cbranch_vccnz .LBB22_3
; %bb.2:
	v_mov_b32_e32 v1, s16
	v_mov_b32_e32 v2, s17
	flat_load_dwordx2 v[13:14], v[1:2] offset:8
.LBB22_3:
	s_bfe_u32 s9, s9, 0x10008
	v_mov_b32_e32 v15, 0
	s_cmp_eq_u32 s9, 0
	v_mov_b32_e32 v16, 0
	s_cbranch_scc1 .LBB22_6
; %bb.4:
	s_mov_b64 s[16:17], src_private_base
	s_and_b64 s[10:11], s[10:11], exec
	s_cselect_b32 s9, s17, s21
	s_cselect_b32 s10, 8, s20
	v_mov_b32_e32 v1, s10
	v_mov_b32_e32 v2, s9
	flat_load_dwordx2 v[15:16], v[1:2]
	v_mov_b32_e32 v11, s22
	s_and_b64 vcc, exec, s[6:7]
	v_mov_b32_e32 v12, s23
	s_cbranch_vccnz .LBB22_6
; %bb.5:
	v_mov_b32_e32 v1, s20
	v_mov_b32_e32 v2, s21
	flat_load_dwordx2 v[11:12], v[1:2] offset:8
.LBB22_6:
	s_lshl_b32 s6, s8, 3
	v_lshrrev_b32_e32 v1, 5, v0
	s_and_b32 s6, s6, 0x7fffff8
	v_or_b32_e32 v1, s6, v1
	v_mov_b32_e32 v2, 0
	v_cmp_gt_i64_e32 vcc, s[12:13], v[1:2]
	s_and_saveexec_b64 s[6:7], vcc
	s_cbranch_execz .LBB22_35
; %bb.7:
	s_load_dwordx4 s[8:11], s[4:5], 0x20
	s_load_dwordx8 s[16:23], s[4:5], 0x48
	s_load_dwordx2 s[12:13], s[4:5], 0x30
	v_lshlrev_b32_e32 v19, 3, v1
	s_waitcnt lgkmcnt(0)
	global_load_dwordx4 v[1:4], v19, s[8:9]
	global_load_dwordx4 v[5:8], v19, s[16:17]
	global_load_dwordx2 v[17:18], v19, s[22:23]
	s_waitcnt vmcnt(0)
	v_subrev_co_u32_e32 v19, vcc, s24, v1
	v_subbrev_co_u32_e32 v20, vcc, 0, v2, vcc
	v_cmp_lt_i64_e32 vcc, v[1:2], v[3:4]
	v_mov_b32_e32 v1, s14
	v_mov_b32_e32 v2, s15
	s_and_saveexec_b64 s[6:7], vcc
	s_cbranch_execz .LBB22_9
; %bb.8:
	v_lshlrev_b64 v[1:2], 3, v[19:20]
	v_mov_b32_e32 v21, s11
	v_add_co_u32_e32 v1, vcc, s10, v1
	v_addc_co_u32_e32 v2, vcc, v21, v2, vcc
	global_load_dwordx2 v[1:2], v[1:2], off
	s_waitcnt vmcnt(0)
	v_subrev_co_u32_e32 v1, vcc, s24, v1
	v_subbrev_co_u32_e32 v2, vcc, 0, v2, vcc
.LBB22_9:
	s_or_b64 exec, exec, s[6:7]
	s_load_dwordx2 s[6:7], s[4:5], 0x68
	v_subrev_co_u32_e32 v21, vcc, s25, v5
	v_subbrev_co_u32_e32 v22, vcc, 0, v6, vcc
	v_cmp_lt_i64_e32 vcc, v[5:6], v[7:8]
	v_mov_b32_e32 v24, s15
	s_mov_b32 s22, s25
	v_mov_b32_e32 v23, s14
	s_and_saveexec_b64 s[4:5], vcc
	s_cbranch_execz .LBB22_11
; %bb.10:
	v_lshlrev_b64 v[5:6], 3, v[21:22]
	v_mov_b32_e32 v23, s19
	v_add_co_u32_e32 v5, vcc, s18, v5
	v_addc_co_u32_e32 v6, vcc, v23, v6, vcc
	global_load_dwordx2 v[5:6], v[5:6], off
	s_waitcnt vmcnt(0)
	v_subrev_co_u32_e32 v23, vcc, s22, v5
	v_subbrev_co_u32_e32 v24, vcc, 0, v6, vcc
.LBB22_11:
	s_or_b64 exec, exec, s[4:5]
	v_and_b32_e32 v5, 0xe0, v0
	v_or_b32_e32 v35, 0x1000, v5
	v_lshlrev_b32_e32 v36, 4, v5
	v_subrev_co_u32_e32 v5, vcc, s24, v3
	v_subbrev_co_u32_e32 v6, vcc, 0, v4, vcc
	v_subrev_co_u32_e32 v7, vcc, s22, v7
	v_subbrev_co_u32_e32 v8, vcc, 0, v8, vcc
	;; [unrolled: 2-line block ×3, first 2 shown]
	v_cmp_lt_i64_e32 vcc, v[23:24], v[1:2]
	v_and_b32_e32 v0, 31, v0
	v_cndmask_b32_e32 v24, v2, v24, vcc
	v_cndmask_b32_e32 v23, v1, v23, vcc
	v_add_co_u32_e32 v19, vcc, v19, v0
	v_mbcnt_lo_u32_b32 v1, -1, 0
	v_addc_co_u32_e32 v20, vcc, 0, v20, vcc
	v_mbcnt_hi_u32_b32 v1, -1, v1
	v_add_co_u32_e32 v21, vcc, v21, v0
	v_and_b32_e32 v2, 64, v1
	v_xor_b32_e32 v3, 31, v0
	v_addc_co_u32_e32 v22, vcc, 0, v22, vcc
	v_add_u32_e32 v2, 64, v2
	v_lshrrev_b32_e64 v37, v3, -1
	v_xor_b32_e32 v3, 16, v1
	v_cmp_lt_i32_e32 vcc, v3, v2
	v_cndmask_b32_e32 v3, v1, v3, vcc
	v_lshlrev_b32_e32 v38, 2, v3
	v_xor_b32_e32 v3, 8, v1
	v_cmp_lt_i32_e32 vcc, v3, v2
	v_cndmask_b32_e32 v3, v1, v3, vcc
	v_lshlrev_b32_e32 v39, 2, v3
	;; [unrolled: 4-line block ×4, first 2 shown]
	v_xor_b32_e32 v3, 1, v1
	s_add_u32 s23, s12, 8
	v_cmp_lt_i32_e32 vcc, v3, v2
	s_addc_u32 s25, s13, 0
	v_lshl_or_b32 v4, v0, 4, v36
	v_cndmask_b32_e32 v1, v1, v3, vcc
	s_add_u32 s26, s20, 8
	v_add_u32_e32 v43, v35, v0
	v_mov_b32_e32 v0, 0
	v_lshlrev_b32_e32 v42, 2, v1
	s_addc_u32 s27, s21, 0
	s_mov_b64 s[8:9], 0
	v_mov_b32_e32 v1, v0
	v_mov_b32_e32 v2, v0
	;; [unrolled: 1-line block ×4, first 2 shown]
	s_branch .LBB22_13
.LBB22_12:                              ;   in Loop: Header=BB22_13 Depth=1
	s_or_b64 exec, exec, s[12:13]
	ds_bpermute_b32 v23, v38, v25
	ds_bpermute_b32 v24, v38, v26
	s_bcnt1_i32_b64 s12, vcc
	v_add_co_u32_e32 v17, vcc, s12, v17
	v_addc_co_u32_e32 v18, vcc, 0, v18, vcc
	s_waitcnt lgkmcnt(0)
	v_cmp_lt_i64_e64 s[4:5], v[23:24], v[25:26]
	v_cndmask_b32_e64 v24, v26, v24, s[4:5]
	v_cndmask_b32_e64 v23, v25, v23, s[4:5]
	ds_bpermute_b32 v26, v39, v24
	ds_bpermute_b32 v25, v39, v23
	s_waitcnt lgkmcnt(0)
	v_cmp_lt_i64_e64 s[4:5], v[25:26], v[23:24]
	v_cndmask_b32_e64 v24, v24, v26, s[4:5]
	v_cndmask_b32_e64 v23, v23, v25, s[4:5]
	ds_bpermute_b32 v26, v40, v24
	ds_bpermute_b32 v25, v40, v23
	;; [unrolled: 6-line block ×4, first 2 shown]
	s_waitcnt lgkmcnt(0)
	v_cmp_lt_i64_e64 s[4:5], v[25:26], v[23:24]
	v_cndmask_b32_e64 v24, v24, v26, s[4:5]
	v_cndmask_b32_e64 v23, v23, v25, s[4:5]
	v_cmp_le_i64_e64 s[4:5], s[14:15], v[23:24]
	s_or_b64 s[8:9], s[4:5], s[8:9]
	s_andn2_b64 exec, exec, s[8:9]
	s_cbranch_execz .LBB22_35
.LBB22_13:                              ; =>This Loop Header: Depth=1
                                        ;     Child Loop BB22_16 Depth 2
                                        ;     Child Loop BB22_26 Depth 2
	v_cmp_lt_i64_e32 vcc, v[19:20], v[5:6]
	v_mov_b32_e32 v26, s15
	v_mov_b32_e32 v25, s14
	ds_write_b8 v43, v0
	ds_write_b128 v4, v[0:3]
	s_waitcnt lgkmcnt(0)
	s_and_saveexec_b64 s[12:13], vcc
	s_cbranch_execz .LBB22_23
; %bb.14:                               ;   in Loop: Header=BB22_13 Depth=1
	v_lshlrev_b64 v[25:26], 3, v[19:20]
	v_mov_b32_e32 v28, s11
	v_add_co_u32_e32 v27, vcc, s10, v25
	v_addc_co_u32_e32 v28, vcc, v28, v26, vcc
	v_lshlrev_b64 v[25:26], 4, v[19:20]
	v_mov_b32_e32 v30, s25
	v_add_co_u32_e32 v29, vcc, s23, v25
	v_addc_co_u32_e32 v30, vcc, v30, v26, vcc
	v_mov_b32_e32 v26, s15
	s_mov_b64 s[16:17], 0
	v_mov_b32_e32 v25, s14
	s_branch .LBB22_16
.LBB22_15:                              ;   in Loop: Header=BB22_16 Depth=2
	s_or_b64 exec, exec, s[20:21]
	s_and_b64 s[4:5], exec, s[4:5]
	s_or_b64 s[16:17], s[4:5], s[16:17]
	s_andn2_b64 exec, exec, s[16:17]
	s_cbranch_execz .LBB22_22
.LBB22_16:                              ;   Parent Loop BB22_13 Depth=1
                                        ; =>  This Inner Loop Header: Depth=2
	global_load_dwordx2 v[31:32], v[27:28], off
	s_waitcnt vmcnt(0)
	v_subrev_co_u32_e32 v33, vcc, s24, v31
	v_subbrev_co_u32_e32 v34, vcc, 0, v32, vcc
	v_sub_co_u32_e32 v31, vcc, v33, v23
	v_subb_co_u32_e32 v32, vcc, v34, v24, vcc
	v_cmp_gt_i64_e32 vcc, 32, v[31:32]
	v_cmp_lt_i64_e64 s[4:5], 31, v[31:32]
	s_and_saveexec_b64 s[20:21], s[4:5]
	s_xor_b64 s[20:21], exec, s[20:21]
	s_cbranch_execnz .LBB22_19
; %bb.17:                               ;   in Loop: Header=BB22_16 Depth=2
	s_andn2_saveexec_b64 s[4:5], s[20:21]
	s_cbranch_execnz .LBB22_20
.LBB22_18:                              ;   in Loop: Header=BB22_16 Depth=2
	s_or_b64 exec, exec, s[4:5]
	s_mov_b64 s[4:5], -1
	s_and_saveexec_b64 s[20:21], vcc
	s_cbranch_execz .LBB22_15
	s_branch .LBB22_21
.LBB22_19:                              ;   in Loop: Header=BB22_16 Depth=2
	v_cmp_lt_i64_e64 s[4:5], v[33:34], v[25:26]
                                        ; implicit-def: $vgpr31
	v_cndmask_b32_e64 v26, v26, v34, s[4:5]
	v_cndmask_b32_e64 v25, v25, v33, s[4:5]
	s_andn2_saveexec_b64 s[4:5], s[20:21]
	s_cbranch_execz .LBB22_18
.LBB22_20:                              ;   in Loop: Header=BB22_16 Depth=2
	global_load_dwordx4 v[45:48], v[29:30], off offset:-8
	s_waitcnt vmcnt(0)
	v_mul_f64 v[32:33], v[47:48], -v[13:14]
	v_mul_f64 v[49:50], v[9:10], v[47:48]
	v_fma_f64 v[47:48], v[9:10], v[45:46], v[32:33]
	v_fma_f64 v[49:50], v[13:14], v[45:46], v[49:50]
	v_add_u32_e32 v32, v35, v31
	v_lshl_add_u32 v31, v31, 4, v36
	ds_write_b8 v32, v44
	ds_write_b128 v31, v[47:50]
	s_or_b64 exec, exec, s[4:5]
	s_mov_b64 s[4:5], -1
	s_and_saveexec_b64 s[20:21], vcc
	s_cbranch_execz .LBB22_15
.LBB22_21:                              ;   in Loop: Header=BB22_16 Depth=2
	v_add_co_u32_e32 v19, vcc, 32, v19
	v_addc_co_u32_e32 v20, vcc, 0, v20, vcc
	v_add_co_u32_e32 v27, vcc, 0x100, v27
	v_addc_co_u32_e32 v28, vcc, 0, v28, vcc
	v_cmp_ge_i64_e64 s[4:5], v[19:20], v[5:6]
	v_add_co_u32_e32 v29, vcc, 0x200, v29
	v_addc_co_u32_e32 v30, vcc, 0, v30, vcc
	s_orn2_b64 s[4:5], s[4:5], exec
	s_branch .LBB22_15
.LBB22_22:                              ;   in Loop: Header=BB22_13 Depth=1
	s_or_b64 exec, exec, s[16:17]
.LBB22_23:                              ;   in Loop: Header=BB22_13 Depth=1
	s_or_b64 exec, exec, s[12:13]
	v_cmp_lt_i64_e32 vcc, v[21:22], v[7:8]
	s_waitcnt lgkmcnt(0)
	s_and_saveexec_b64 s[12:13], vcc
	s_cbranch_execz .LBB22_33
; %bb.24:                               ;   in Loop: Header=BB22_13 Depth=1
	v_lshlrev_b64 v[27:28], 3, v[21:22]
	v_mov_b32_e32 v29, s19
	v_add_co_u32_e32 v27, vcc, s18, v27
	v_addc_co_u32_e32 v28, vcc, v29, v28, vcc
	v_lshlrev_b64 v[29:30], 4, v[21:22]
	v_mov_b32_e32 v31, s27
	v_add_co_u32_e32 v29, vcc, s26, v29
	v_addc_co_u32_e32 v30, vcc, v31, v30, vcc
	s_mov_b64 s[16:17], 0
	s_branch .LBB22_26
.LBB22_25:                              ;   in Loop: Header=BB22_26 Depth=2
	s_or_b64 exec, exec, s[20:21]
	s_and_b64 s[4:5], exec, s[4:5]
	s_or_b64 s[16:17], s[4:5], s[16:17]
	s_andn2_b64 exec, exec, s[16:17]
	s_cbranch_execz .LBB22_32
.LBB22_26:                              ;   Parent Loop BB22_13 Depth=1
                                        ; =>  This Inner Loop Header: Depth=2
	global_load_dwordx2 v[31:32], v[27:28], off
	s_waitcnt vmcnt(0)
	v_subrev_co_u32_e32 v33, vcc, s22, v31
	v_subbrev_co_u32_e32 v34, vcc, 0, v32, vcc
	v_sub_co_u32_e32 v31, vcc, v33, v23
	v_subb_co_u32_e32 v32, vcc, v34, v24, vcc
	v_cmp_gt_i64_e32 vcc, 32, v[31:32]
	v_cmp_lt_i64_e64 s[4:5], 31, v[31:32]
	s_and_saveexec_b64 s[20:21], s[4:5]
	s_xor_b64 s[20:21], exec, s[20:21]
	s_cbranch_execnz .LBB22_29
; %bb.27:                               ;   in Loop: Header=BB22_26 Depth=2
	s_andn2_saveexec_b64 s[4:5], s[20:21]
	s_cbranch_execnz .LBB22_30
.LBB22_28:                              ;   in Loop: Header=BB22_26 Depth=2
	s_or_b64 exec, exec, s[4:5]
	s_mov_b64 s[4:5], -1
	s_and_saveexec_b64 s[20:21], vcc
	s_cbranch_execz .LBB22_25
	s_branch .LBB22_31
.LBB22_29:                              ;   in Loop: Header=BB22_26 Depth=2
	v_cmp_lt_i64_e64 s[4:5], v[33:34], v[25:26]
                                        ; implicit-def: $vgpr31
	v_cndmask_b32_e64 v26, v26, v34, s[4:5]
	v_cndmask_b32_e64 v25, v25, v33, s[4:5]
	s_andn2_saveexec_b64 s[4:5], s[20:21]
	s_cbranch_execz .LBB22_28
.LBB22_30:                              ;   in Loop: Header=BB22_26 Depth=2
	global_load_dwordx4 v[45:48], v[29:30], off offset:-8
	v_lshl_add_u32 v34, v31, 4, v36
	ds_read_b128 v[49:52], v34
	v_add_u32_e32 v31, v35, v31
	s_waitcnt vmcnt(0) lgkmcnt(0)
	v_fma_f64 v[32:33], v[15:16], v[45:46], v[49:50]
	v_fma_f64 v[49:50], v[11:12], v[45:46], v[51:52]
	v_fma_f64 v[45:46], -v[11:12], v[47:48], v[32:33]
	v_fma_f64 v[47:48], v[15:16], v[47:48], v[49:50]
	ds_write_b8 v31, v44
	ds_write_b128 v34, v[45:48]
	s_or_b64 exec, exec, s[4:5]
	s_mov_b64 s[4:5], -1
	s_and_saveexec_b64 s[20:21], vcc
	s_cbranch_execz .LBB22_25
.LBB22_31:                              ;   in Loop: Header=BB22_26 Depth=2
	v_add_co_u32_e32 v21, vcc, 32, v21
	v_addc_co_u32_e32 v22, vcc, 0, v22, vcc
	v_add_co_u32_e32 v27, vcc, 0x100, v27
	v_addc_co_u32_e32 v28, vcc, 0, v28, vcc
	v_cmp_ge_i64_e64 s[4:5], v[21:22], v[7:8]
	v_add_co_u32_e32 v29, vcc, 0x200, v29
	v_addc_co_u32_e32 v30, vcc, 0, v30, vcc
	s_orn2_b64 s[4:5], s[4:5], exec
	s_branch .LBB22_25
.LBB22_32:                              ;   in Loop: Header=BB22_13 Depth=1
	s_or_b64 exec, exec, s[16:17]
.LBB22_33:                              ;   in Loop: Header=BB22_13 Depth=1
	s_or_b64 exec, exec, s[12:13]
	s_waitcnt lgkmcnt(0)
	ds_read_u8 v23, v43
	s_waitcnt lgkmcnt(0)
	v_and_b32_e32 v24, 1, v23
	v_cmp_eq_u32_e64 s[4:5], 1, v24
	v_cmp_ne_u16_e32 vcc, 0, v23
	s_and_saveexec_b64 s[12:13], s[4:5]
	s_cbranch_execz .LBB22_12
; %bb.34:                               ;   in Loop: Header=BB22_13 Depth=1
	v_lshlrev_b64 v[23:24], 4, v[17:18]
	v_mov_b32_e32 v27, s7
	v_add_co_u32_e64 v23, s[4:5], s6, v23
	v_addc_co_u32_e64 v24, s[4:5], v27, v24, s[4:5]
	v_and_b32_e32 v27, vcc_lo, v37
	v_bcnt_u32_b32 v27, v27, 0
	v_lshlrev_b32_e32 v31, 4, v27
	ds_read2_b64 v[27:30], v4 offset1:1
	v_add_co_u32_e64 v23, s[4:5], v23, v31
	v_addc_co_u32_e64 v24, s[4:5], 0, v24, s[4:5]
	s_waitcnt lgkmcnt(0)
	global_store_dwordx4 v[23:24], v[27:30], off offset:-16
	s_branch .LBB22_12
.LBB22_35:
	s_endpgm
	.section	.rodata,"a",@progbits
	.p2align	6, 0x0
	.amdhsa_kernel _ZN9rocsparseL37csrgeam_fill_numeric_multipass_kernelILj256ELj32Ell21rocsparse_complex_numIdEEEvllNS_24const_host_device_scalarIT3_EEPKT1_PKT2_PKS4_S5_S8_SB_SD_S8_PS4_21rocsparse_index_base_SF_SF_bbb
		.amdhsa_group_segment_fixed_size 4352
		.amdhsa_private_segment_fixed_size 24
		.amdhsa_kernarg_size 128
		.amdhsa_user_sgpr_count 8
		.amdhsa_user_sgpr_private_segment_buffer 1
		.amdhsa_user_sgpr_dispatch_ptr 0
		.amdhsa_user_sgpr_queue_ptr 0
		.amdhsa_user_sgpr_kernarg_segment_ptr 1
		.amdhsa_user_sgpr_dispatch_id 0
		.amdhsa_user_sgpr_flat_scratch_init 1
		.amdhsa_user_sgpr_private_segment_size 0
		.amdhsa_uses_dynamic_stack 0
		.amdhsa_system_sgpr_private_segment_wavefront_offset 1
		.amdhsa_system_sgpr_workgroup_id_x 1
		.amdhsa_system_sgpr_workgroup_id_y 0
		.amdhsa_system_sgpr_workgroup_id_z 0
		.amdhsa_system_sgpr_workgroup_info 0
		.amdhsa_system_vgpr_workitem_id 0
		.amdhsa_next_free_vgpr 53
		.amdhsa_next_free_sgpr 32
		.amdhsa_reserve_vcc 1
		.amdhsa_reserve_flat_scratch 1
		.amdhsa_float_round_mode_32 0
		.amdhsa_float_round_mode_16_64 0
		.amdhsa_float_denorm_mode_32 3
		.amdhsa_float_denorm_mode_16_64 3
		.amdhsa_dx10_clamp 1
		.amdhsa_ieee_mode 1
		.amdhsa_fp16_overflow 0
		.amdhsa_exception_fp_ieee_invalid_op 0
		.amdhsa_exception_fp_denorm_src 0
		.amdhsa_exception_fp_ieee_div_zero 0
		.amdhsa_exception_fp_ieee_overflow 0
		.amdhsa_exception_fp_ieee_underflow 0
		.amdhsa_exception_fp_ieee_inexact 0
		.amdhsa_exception_int_div_zero 0
	.end_amdhsa_kernel
	.section	.text._ZN9rocsparseL37csrgeam_fill_numeric_multipass_kernelILj256ELj32Ell21rocsparse_complex_numIdEEEvllNS_24const_host_device_scalarIT3_EEPKT1_PKT2_PKS4_S5_S8_SB_SD_S8_PS4_21rocsparse_index_base_SF_SF_bbb,"axG",@progbits,_ZN9rocsparseL37csrgeam_fill_numeric_multipass_kernelILj256ELj32Ell21rocsparse_complex_numIdEEEvllNS_24const_host_device_scalarIT3_EEPKT1_PKT2_PKS4_S5_S8_SB_SD_S8_PS4_21rocsparse_index_base_SF_SF_bbb,comdat
.Lfunc_end22:
	.size	_ZN9rocsparseL37csrgeam_fill_numeric_multipass_kernelILj256ELj32Ell21rocsparse_complex_numIdEEEvllNS_24const_host_device_scalarIT3_EEPKT1_PKT2_PKS4_S5_S8_SB_SD_S8_PS4_21rocsparse_index_base_SF_SF_bbb, .Lfunc_end22-_ZN9rocsparseL37csrgeam_fill_numeric_multipass_kernelILj256ELj32Ell21rocsparse_complex_numIdEEEvllNS_24const_host_device_scalarIT3_EEPKT1_PKT2_PKS4_S5_S8_SB_SD_S8_PS4_21rocsparse_index_base_SF_SF_bbb
                                        ; -- End function
	.set _ZN9rocsparseL37csrgeam_fill_numeric_multipass_kernelILj256ELj32Ell21rocsparse_complex_numIdEEEvllNS_24const_host_device_scalarIT3_EEPKT1_PKT2_PKS4_S5_S8_SB_SD_S8_PS4_21rocsparse_index_base_SF_SF_bbb.num_vgpr, 53
	.set _ZN9rocsparseL37csrgeam_fill_numeric_multipass_kernelILj256ELj32Ell21rocsparse_complex_numIdEEEvllNS_24const_host_device_scalarIT3_EEPKT1_PKT2_PKS4_S5_S8_SB_SD_S8_PS4_21rocsparse_index_base_SF_SF_bbb.num_agpr, 0
	.set _ZN9rocsparseL37csrgeam_fill_numeric_multipass_kernelILj256ELj32Ell21rocsparse_complex_numIdEEEvllNS_24const_host_device_scalarIT3_EEPKT1_PKT2_PKS4_S5_S8_SB_SD_S8_PS4_21rocsparse_index_base_SF_SF_bbb.numbered_sgpr, 32
	.set _ZN9rocsparseL37csrgeam_fill_numeric_multipass_kernelILj256ELj32Ell21rocsparse_complex_numIdEEEvllNS_24const_host_device_scalarIT3_EEPKT1_PKT2_PKS4_S5_S8_SB_SD_S8_PS4_21rocsparse_index_base_SF_SF_bbb.num_named_barrier, 0
	.set _ZN9rocsparseL37csrgeam_fill_numeric_multipass_kernelILj256ELj32Ell21rocsparse_complex_numIdEEEvllNS_24const_host_device_scalarIT3_EEPKT1_PKT2_PKS4_S5_S8_SB_SD_S8_PS4_21rocsparse_index_base_SF_SF_bbb.private_seg_size, 24
	.set _ZN9rocsparseL37csrgeam_fill_numeric_multipass_kernelILj256ELj32Ell21rocsparse_complex_numIdEEEvllNS_24const_host_device_scalarIT3_EEPKT1_PKT2_PKS4_S5_S8_SB_SD_S8_PS4_21rocsparse_index_base_SF_SF_bbb.uses_vcc, 1
	.set _ZN9rocsparseL37csrgeam_fill_numeric_multipass_kernelILj256ELj32Ell21rocsparse_complex_numIdEEEvllNS_24const_host_device_scalarIT3_EEPKT1_PKT2_PKS4_S5_S8_SB_SD_S8_PS4_21rocsparse_index_base_SF_SF_bbb.uses_flat_scratch, 1
	.set _ZN9rocsparseL37csrgeam_fill_numeric_multipass_kernelILj256ELj32Ell21rocsparse_complex_numIdEEEvllNS_24const_host_device_scalarIT3_EEPKT1_PKT2_PKS4_S5_S8_SB_SD_S8_PS4_21rocsparse_index_base_SF_SF_bbb.has_dyn_sized_stack, 0
	.set _ZN9rocsparseL37csrgeam_fill_numeric_multipass_kernelILj256ELj32Ell21rocsparse_complex_numIdEEEvllNS_24const_host_device_scalarIT3_EEPKT1_PKT2_PKS4_S5_S8_SB_SD_S8_PS4_21rocsparse_index_base_SF_SF_bbb.has_recursion, 0
	.set _ZN9rocsparseL37csrgeam_fill_numeric_multipass_kernelILj256ELj32Ell21rocsparse_complex_numIdEEEvllNS_24const_host_device_scalarIT3_EEPKT1_PKT2_PKS4_S5_S8_SB_SD_S8_PS4_21rocsparse_index_base_SF_SF_bbb.has_indirect_call, 0
	.section	.AMDGPU.csdata,"",@progbits
; Kernel info:
; codeLenInByte = 1916
; TotalNumSgprs: 38
; NumVgprs: 53
; ScratchSize: 24
; MemoryBound: 0
; FloatMode: 240
; IeeeMode: 1
; LDSByteSize: 4352 bytes/workgroup (compile time only)
; SGPRBlocks: 4
; VGPRBlocks: 13
; NumSGPRsForWavesPerEU: 38
; NumVGPRsForWavesPerEU: 53
; Occupancy: 4
; WaveLimiterHint : 1
; COMPUTE_PGM_RSRC2:SCRATCH_EN: 1
; COMPUTE_PGM_RSRC2:USER_SGPR: 8
; COMPUTE_PGM_RSRC2:TRAP_HANDLER: 0
; COMPUTE_PGM_RSRC2:TGID_X_EN: 1
; COMPUTE_PGM_RSRC2:TGID_Y_EN: 0
; COMPUTE_PGM_RSRC2:TGID_Z_EN: 0
; COMPUTE_PGM_RSRC2:TIDIG_COMP_CNT: 0
	.section	.text._ZN9rocsparseL37csrgeam_fill_numeric_multipass_kernelILj256ELj64Ell21rocsparse_complex_numIdEEEvllNS_24const_host_device_scalarIT3_EEPKT1_PKT2_PKS4_S5_S8_SB_SD_S8_PS4_21rocsparse_index_base_SF_SF_bbb,"axG",@progbits,_ZN9rocsparseL37csrgeam_fill_numeric_multipass_kernelILj256ELj64Ell21rocsparse_complex_numIdEEEvllNS_24const_host_device_scalarIT3_EEPKT1_PKT2_PKS4_S5_S8_SB_SD_S8_PS4_21rocsparse_index_base_SF_SF_bbb,comdat
	.globl	_ZN9rocsparseL37csrgeam_fill_numeric_multipass_kernelILj256ELj64Ell21rocsparse_complex_numIdEEEvllNS_24const_host_device_scalarIT3_EEPKT1_PKT2_PKS4_S5_S8_SB_SD_S8_PS4_21rocsparse_index_base_SF_SF_bbb ; -- Begin function _ZN9rocsparseL37csrgeam_fill_numeric_multipass_kernelILj256ELj64Ell21rocsparse_complex_numIdEEEvllNS_24const_host_device_scalarIT3_EEPKT1_PKT2_PKS4_S5_S8_SB_SD_S8_PS4_21rocsparse_index_base_SF_SF_bbb
	.p2align	8
	.type	_ZN9rocsparseL37csrgeam_fill_numeric_multipass_kernelILj256ELj64Ell21rocsparse_complex_numIdEEEvllNS_24const_host_device_scalarIT3_EEPKT1_PKT2_PKS4_S5_S8_SB_SD_S8_PS4_21rocsparse_index_base_SF_SF_bbb,@function
_ZN9rocsparseL37csrgeam_fill_numeric_multipass_kernelILj256ELj64Ell21rocsparse_complex_numIdEEEvllNS_24const_host_device_scalarIT3_EEPKT1_PKT2_PKS4_S5_S8_SB_SD_S8_PS4_21rocsparse_index_base_SF_SF_bbb: ; @_ZN9rocsparseL37csrgeam_fill_numeric_multipass_kernelILj256ELj64Ell21rocsparse_complex_numIdEEEvllNS_24const_host_device_scalarIT3_EEPKT1_PKT2_PKS4_S5_S8_SB_SD_S8_PS4_21rocsparse_index_base_SF_SF_bbb
; %bb.0:
	s_add_u32 flat_scratch_lo, s6, s9
	s_addc_u32 flat_scratch_hi, s7, 0
	s_add_u32 s0, s0, s9
	s_load_dword s9, s[4:5], 0x7c
	s_load_dwordx8 s[12:19], s[4:5], 0x0
	s_load_dwordx4 s[20:23], s[4:5], 0x38
	s_load_dwordx4 s[24:27], s[4:5], 0x70
	s_addc_u32 s1, s1, 0
	s_waitcnt lgkmcnt(0)
	s_bitcmp1_b32 s9, 16
	v_mov_b32_e32 v1, s17
	buffer_store_dword v1, off, s[0:3], 0 offset:4
	v_mov_b32_e32 v1, s16
	s_cselect_b64 s[10:11], -1, 0
	buffer_store_dword v1, off, s[0:3], 0
	v_mov_b32_e32 v1, s21
	s_xor_b64 s[6:7], s[10:11], -1
	buffer_store_dword v1, off, s[0:3], 0 offset:12
	v_mov_b32_e32 v1, s20
	buffer_store_dword v1, off, s[0:3], 0 offset:8
	v_mov_b32_e32 v11, 0
	v_cndmask_b32_e64 v1, 0, 1, s[6:7]
	v_mov_b32_e32 v9, 0
	v_mov_b32_e32 v13, 0
	;; [unrolled: 1-line block ×3, first 2 shown]
	s_bitcmp0_b32 s27, 0
	v_mov_b32_e32 v10, 0
	v_mov_b32_e32 v14, 0
	v_cmp_ne_u32_e64 s[6:7], 1, v1
	s_cbranch_scc1 .LBB23_3
; %bb.1:
	s_mov_b64 s[28:29], src_private_base
	s_and_b64 s[30:31], s[10:11], exec
	s_cselect_b32 s27, s29, s17
	s_cselect_b32 s28, 0, s16
	v_mov_b32_e32 v1, s28
	v_mov_b32_e32 v2, s27
	flat_load_dwordx2 v[9:10], v[1:2]
	v_mov_b32_e32 v13, s18
	s_and_b64 vcc, exec, s[6:7]
	v_mov_b32_e32 v14, s19
	s_cbranch_vccnz .LBB23_3
; %bb.2:
	v_mov_b32_e32 v1, s16
	v_mov_b32_e32 v2, s17
	flat_load_dwordx2 v[13:14], v[1:2] offset:8
.LBB23_3:
	s_bfe_u32 s9, s9, 0x10008
	v_mov_b32_e32 v15, 0
	s_cmp_eq_u32 s9, 0
	v_mov_b32_e32 v16, 0
	s_cbranch_scc1 .LBB23_6
; %bb.4:
	s_mov_b64 s[16:17], src_private_base
	s_and_b64 s[10:11], s[10:11], exec
	s_cselect_b32 s9, s17, s21
	s_cselect_b32 s10, 8, s20
	v_mov_b32_e32 v1, s10
	v_mov_b32_e32 v2, s9
	flat_load_dwordx2 v[15:16], v[1:2]
	v_mov_b32_e32 v11, s22
	s_and_b64 vcc, exec, s[6:7]
	v_mov_b32_e32 v12, s23
	s_cbranch_vccnz .LBB23_6
; %bb.5:
	v_mov_b32_e32 v1, s20
	v_mov_b32_e32 v2, s21
	flat_load_dwordx2 v[11:12], v[1:2] offset:8
.LBB23_6:
	s_lshl_b32 s6, s8, 2
	v_lshrrev_b32_e32 v1, 6, v0
	s_and_b32 s6, s6, 0x3fffffc
	v_or_b32_e32 v1, s6, v1
	v_mov_b32_e32 v2, 0
	v_cmp_gt_i64_e32 vcc, s[12:13], v[1:2]
	s_and_saveexec_b64 s[6:7], vcc
	s_cbranch_execz .LBB23_35
; %bb.7:
	s_load_dwordx4 s[8:11], s[4:5], 0x20
	s_load_dwordx8 s[16:23], s[4:5], 0x48
	s_load_dwordx2 s[12:13], s[4:5], 0x30
	v_lshlrev_b32_e32 v19, 3, v1
	s_waitcnt lgkmcnt(0)
	global_load_dwordx4 v[1:4], v19, s[8:9]
	global_load_dwordx4 v[5:8], v19, s[16:17]
	global_load_dwordx2 v[17:18], v19, s[22:23]
	s_waitcnt vmcnt(0)
	v_subrev_co_u32_e32 v19, vcc, s24, v1
	v_subbrev_co_u32_e32 v20, vcc, 0, v2, vcc
	v_cmp_lt_i64_e32 vcc, v[1:2], v[3:4]
	v_mov_b32_e32 v1, s14
	v_mov_b32_e32 v2, s15
	s_and_saveexec_b64 s[6:7], vcc
	s_cbranch_execz .LBB23_9
; %bb.8:
	v_lshlrev_b64 v[1:2], 3, v[19:20]
	v_mov_b32_e32 v21, s11
	v_add_co_u32_e32 v1, vcc, s10, v1
	v_addc_co_u32_e32 v2, vcc, v21, v2, vcc
	global_load_dwordx2 v[1:2], v[1:2], off
	s_waitcnt vmcnt(0)
	v_subrev_co_u32_e32 v1, vcc, s24, v1
	v_subbrev_co_u32_e32 v2, vcc, 0, v2, vcc
.LBB23_9:
	s_or_b64 exec, exec, s[6:7]
	s_load_dwordx2 s[6:7], s[4:5], 0x68
	v_subrev_co_u32_e32 v21, vcc, s25, v5
	v_subbrev_co_u32_e32 v22, vcc, 0, v6, vcc
	v_cmp_lt_i64_e32 vcc, v[5:6], v[7:8]
	v_mov_b32_e32 v24, s15
	s_mov_b32 s22, s25
	v_mov_b32_e32 v23, s14
	s_and_saveexec_b64 s[4:5], vcc
	s_cbranch_execz .LBB23_11
; %bb.10:
	v_lshlrev_b64 v[5:6], 3, v[21:22]
	v_mov_b32_e32 v23, s19
	v_add_co_u32_e32 v5, vcc, s18, v5
	v_addc_co_u32_e32 v6, vcc, v23, v6, vcc
	global_load_dwordx2 v[5:6], v[5:6], off
	s_waitcnt vmcnt(0)
	v_subrev_co_u32_e32 v23, vcc, s22, v5
	v_subbrev_co_u32_e32 v24, vcc, 0, v6, vcc
.LBB23_11:
	s_or_b64 exec, exec, s[4:5]
	v_and_b32_e32 v5, 0xc0, v0
	v_or_b32_e32 v37, 0x1000, v5
	v_lshlrev_b32_e32 v38, 4, v5
	v_subrev_co_u32_e32 v5, vcc, s24, v3
	v_subbrev_co_u32_e32 v6, vcc, 0, v4, vcc
	v_subrev_co_u32_e32 v7, vcc, s22, v7
	v_subbrev_co_u32_e32 v8, vcc, 0, v8, vcc
	;; [unrolled: 2-line block ×3, first 2 shown]
	v_cmp_lt_i64_e32 vcc, v[23:24], v[1:2]
	v_and_b32_e32 v0, 63, v0
	v_cndmask_b32_e32 v26, v2, v24, vcc
	v_cndmask_b32_e32 v25, v1, v23, vcc
	v_add_co_u32_e32 v19, vcc, v19, v0
	v_mbcnt_lo_u32_b32 v1, -1, 0
	v_addc_co_u32_e32 v20, vcc, 0, v20, vcc
	v_mbcnt_hi_u32_b32 v1, -1, v1
	v_add_co_u32_e32 v21, vcc, v21, v0
	v_and_b32_e32 v2, 64, v1
	v_addc_co_u32_e32 v22, vcc, 0, v22, vcc
	v_add_u32_e32 v2, 64, v2
	v_xor_b32_e32 v3, 32, v1
	v_xor_b32_e32 v23, 16, v1
	v_cmp_lt_i32_e32 vcc, v3, v2
	v_xor_b32_e32 v24, 8, v1
	v_cndmask_b32_e32 v3, v1, v3, vcc
	v_cmp_lt_i32_e32 vcc, v23, v2
	v_xor_b32_e32 v27, 4, v1
	v_lshlrev_b32_e32 v39, 2, v3
	v_cndmask_b32_e32 v3, v1, v23, vcc
	v_cmp_lt_i32_e32 vcc, v24, v2
	v_xor_b32_e32 v28, 2, v1
	v_lshlrev_b32_e32 v40, 2, v3
	;; [unrolled: 4-line block ×3, first 2 shown]
	v_cndmask_b32_e32 v3, v1, v27, vcc
	v_cmp_lt_i32_e32 vcc, v28, v2
	s_add_u32 s23, s12, 8
	v_xor_b32_e32 v30, 63, v0
	v_lshlrev_b32_e32 v42, 2, v3
	v_cndmask_b32_e32 v3, v1, v28, vcc
	v_cmp_lt_i32_e32 vcc, v29, v2
	s_addc_u32 s25, s13, 0
	v_lshl_or_b32 v4, v0, 4, v38
	v_cndmask_b32_e32 v1, v1, v29, vcc
	s_add_u32 s26, s20, 8
	v_add_u32_e32 v45, v37, v0
	v_mov_b32_e32 v0, 0
	v_lshrrev_b64 v[23:24], v30, -1
	v_lshlrev_b32_e32 v43, 2, v3
	v_lshlrev_b32_e32 v44, 2, v1
	s_addc_u32 s27, s21, 0
	s_mov_b64 s[8:9], 0
	v_mov_b32_e32 v1, v0
	v_mov_b32_e32 v2, v0
	;; [unrolled: 1-line block ×4, first 2 shown]
	s_branch .LBB23_13
.LBB23_12:                              ;   in Loop: Header=BB23_13 Depth=1
	s_or_b64 exec, exec, s[12:13]
	ds_bpermute_b32 v25, v39, v27
	ds_bpermute_b32 v26, v39, v28
	s_bcnt1_i32_b64 s12, vcc
	v_add_co_u32_e32 v17, vcc, s12, v17
	v_addc_co_u32_e32 v18, vcc, 0, v18, vcc
	s_waitcnt lgkmcnt(0)
	v_cmp_lt_i64_e64 s[4:5], v[25:26], v[27:28]
	v_cndmask_b32_e64 v26, v28, v26, s[4:5]
	v_cndmask_b32_e64 v25, v27, v25, s[4:5]
	ds_bpermute_b32 v28, v40, v26
	ds_bpermute_b32 v27, v40, v25
	s_waitcnt lgkmcnt(0)
	v_cmp_lt_i64_e64 s[4:5], v[27:28], v[25:26]
	v_cndmask_b32_e64 v26, v26, v28, s[4:5]
	v_cndmask_b32_e64 v25, v25, v27, s[4:5]
	ds_bpermute_b32 v28, v41, v26
	ds_bpermute_b32 v27, v41, v25
	;; [unrolled: 6-line block ×5, first 2 shown]
	s_waitcnt lgkmcnt(0)
	v_cmp_lt_i64_e64 s[4:5], v[27:28], v[25:26]
	v_cndmask_b32_e64 v26, v26, v28, s[4:5]
	v_cndmask_b32_e64 v25, v25, v27, s[4:5]
	v_cmp_le_i64_e64 s[4:5], s[14:15], v[25:26]
	s_or_b64 s[8:9], s[4:5], s[8:9]
	s_andn2_b64 exec, exec, s[8:9]
	s_cbranch_execz .LBB23_35
.LBB23_13:                              ; =>This Loop Header: Depth=1
                                        ;     Child Loop BB23_16 Depth 2
                                        ;     Child Loop BB23_26 Depth 2
	v_cmp_lt_i64_e32 vcc, v[19:20], v[5:6]
	v_mov_b32_e32 v28, s15
	v_mov_b32_e32 v27, s14
	ds_write_b8 v45, v0
	ds_write_b128 v4, v[0:3]
	s_waitcnt lgkmcnt(0)
	s_and_saveexec_b64 s[12:13], vcc
	s_cbranch_execz .LBB23_23
; %bb.14:                               ;   in Loop: Header=BB23_13 Depth=1
	v_lshlrev_b64 v[27:28], 3, v[19:20]
	v_mov_b32_e32 v30, s11
	v_add_co_u32_e32 v29, vcc, s10, v27
	v_addc_co_u32_e32 v30, vcc, v30, v28, vcc
	v_lshlrev_b64 v[27:28], 4, v[19:20]
	v_mov_b32_e32 v32, s25
	v_add_co_u32_e32 v31, vcc, s23, v27
	v_addc_co_u32_e32 v32, vcc, v32, v28, vcc
	v_mov_b32_e32 v28, s15
	s_mov_b64 s[16:17], 0
	v_mov_b32_e32 v27, s14
	s_branch .LBB23_16
.LBB23_15:                              ;   in Loop: Header=BB23_16 Depth=2
	s_or_b64 exec, exec, s[20:21]
	s_and_b64 s[4:5], exec, s[4:5]
	s_or_b64 s[16:17], s[4:5], s[16:17]
	s_andn2_b64 exec, exec, s[16:17]
	s_cbranch_execz .LBB23_22
.LBB23_16:                              ;   Parent Loop BB23_13 Depth=1
                                        ; =>  This Inner Loop Header: Depth=2
	global_load_dwordx2 v[33:34], v[29:30], off
	s_waitcnt vmcnt(0)
	v_subrev_co_u32_e32 v35, vcc, s24, v33
	v_subbrev_co_u32_e32 v36, vcc, 0, v34, vcc
	v_sub_co_u32_e32 v33, vcc, v35, v25
	v_subb_co_u32_e32 v34, vcc, v36, v26, vcc
	v_cmp_gt_i64_e32 vcc, 64, v[33:34]
	v_cmp_lt_i64_e64 s[4:5], 63, v[33:34]
	s_and_saveexec_b64 s[20:21], s[4:5]
	s_xor_b64 s[20:21], exec, s[20:21]
	s_cbranch_execnz .LBB23_19
; %bb.17:                               ;   in Loop: Header=BB23_16 Depth=2
	s_andn2_saveexec_b64 s[4:5], s[20:21]
	s_cbranch_execnz .LBB23_20
.LBB23_18:                              ;   in Loop: Header=BB23_16 Depth=2
	s_or_b64 exec, exec, s[4:5]
	s_mov_b64 s[4:5], -1
	s_and_saveexec_b64 s[20:21], vcc
	s_cbranch_execz .LBB23_15
	s_branch .LBB23_21
.LBB23_19:                              ;   in Loop: Header=BB23_16 Depth=2
	v_cmp_lt_i64_e64 s[4:5], v[35:36], v[27:28]
                                        ; implicit-def: $vgpr33
	v_cndmask_b32_e64 v28, v28, v36, s[4:5]
	v_cndmask_b32_e64 v27, v27, v35, s[4:5]
	s_andn2_saveexec_b64 s[4:5], s[20:21]
	s_cbranch_execz .LBB23_18
.LBB23_20:                              ;   in Loop: Header=BB23_16 Depth=2
	global_load_dwordx4 v[47:50], v[31:32], off offset:-8
	s_waitcnt vmcnt(0)
	v_mul_f64 v[34:35], v[49:50], -v[13:14]
	v_mul_f64 v[51:52], v[9:10], v[49:50]
	v_fma_f64 v[49:50], v[9:10], v[47:48], v[34:35]
	v_fma_f64 v[51:52], v[13:14], v[47:48], v[51:52]
	v_add_u32_e32 v34, v37, v33
	v_lshl_add_u32 v33, v33, 4, v38
	ds_write_b8 v34, v46
	ds_write_b128 v33, v[49:52]
	s_or_b64 exec, exec, s[4:5]
	s_mov_b64 s[4:5], -1
	s_and_saveexec_b64 s[20:21], vcc
	s_cbranch_execz .LBB23_15
.LBB23_21:                              ;   in Loop: Header=BB23_16 Depth=2
	v_add_co_u32_e32 v19, vcc, 64, v19
	v_addc_co_u32_e32 v20, vcc, 0, v20, vcc
	v_add_co_u32_e32 v29, vcc, 0x200, v29
	v_addc_co_u32_e32 v30, vcc, 0, v30, vcc
	v_cmp_ge_i64_e64 s[4:5], v[19:20], v[5:6]
	v_add_co_u32_e32 v31, vcc, 0x400, v31
	v_addc_co_u32_e32 v32, vcc, 0, v32, vcc
	s_orn2_b64 s[4:5], s[4:5], exec
	s_branch .LBB23_15
.LBB23_22:                              ;   in Loop: Header=BB23_13 Depth=1
	s_or_b64 exec, exec, s[16:17]
.LBB23_23:                              ;   in Loop: Header=BB23_13 Depth=1
	s_or_b64 exec, exec, s[12:13]
	v_cmp_lt_i64_e32 vcc, v[21:22], v[7:8]
	s_waitcnt lgkmcnt(0)
	s_and_saveexec_b64 s[12:13], vcc
	s_cbranch_execz .LBB23_33
; %bb.24:                               ;   in Loop: Header=BB23_13 Depth=1
	v_lshlrev_b64 v[29:30], 3, v[21:22]
	v_mov_b32_e32 v31, s19
	v_add_co_u32_e32 v29, vcc, s18, v29
	v_addc_co_u32_e32 v30, vcc, v31, v30, vcc
	v_lshlrev_b64 v[31:32], 4, v[21:22]
	v_mov_b32_e32 v33, s27
	v_add_co_u32_e32 v31, vcc, s26, v31
	v_addc_co_u32_e32 v32, vcc, v33, v32, vcc
	s_mov_b64 s[16:17], 0
	s_branch .LBB23_26
.LBB23_25:                              ;   in Loop: Header=BB23_26 Depth=2
	s_or_b64 exec, exec, s[20:21]
	s_and_b64 s[4:5], exec, s[4:5]
	s_or_b64 s[16:17], s[4:5], s[16:17]
	s_andn2_b64 exec, exec, s[16:17]
	s_cbranch_execz .LBB23_32
.LBB23_26:                              ;   Parent Loop BB23_13 Depth=1
                                        ; =>  This Inner Loop Header: Depth=2
	global_load_dwordx2 v[33:34], v[29:30], off
	s_waitcnt vmcnt(0)
	v_subrev_co_u32_e32 v35, vcc, s22, v33
	v_subbrev_co_u32_e32 v36, vcc, 0, v34, vcc
	v_sub_co_u32_e32 v33, vcc, v35, v25
	v_subb_co_u32_e32 v34, vcc, v36, v26, vcc
	v_cmp_gt_i64_e32 vcc, 64, v[33:34]
	v_cmp_lt_i64_e64 s[4:5], 63, v[33:34]
	s_and_saveexec_b64 s[20:21], s[4:5]
	s_xor_b64 s[20:21], exec, s[20:21]
	s_cbranch_execnz .LBB23_29
; %bb.27:                               ;   in Loop: Header=BB23_26 Depth=2
	s_andn2_saveexec_b64 s[4:5], s[20:21]
	s_cbranch_execnz .LBB23_30
.LBB23_28:                              ;   in Loop: Header=BB23_26 Depth=2
	s_or_b64 exec, exec, s[4:5]
	s_mov_b64 s[4:5], -1
	s_and_saveexec_b64 s[20:21], vcc
	s_cbranch_execz .LBB23_25
	s_branch .LBB23_31
.LBB23_29:                              ;   in Loop: Header=BB23_26 Depth=2
	v_cmp_lt_i64_e64 s[4:5], v[35:36], v[27:28]
                                        ; implicit-def: $vgpr33
	v_cndmask_b32_e64 v28, v28, v36, s[4:5]
	v_cndmask_b32_e64 v27, v27, v35, s[4:5]
	s_andn2_saveexec_b64 s[4:5], s[20:21]
	s_cbranch_execz .LBB23_28
.LBB23_30:                              ;   in Loop: Header=BB23_26 Depth=2
	global_load_dwordx4 v[47:50], v[31:32], off offset:-8
	v_lshl_add_u32 v36, v33, 4, v38
	ds_read_b128 v[51:54], v36
	v_add_u32_e32 v33, v37, v33
	s_waitcnt vmcnt(0) lgkmcnt(0)
	v_fma_f64 v[34:35], v[15:16], v[47:48], v[51:52]
	v_fma_f64 v[51:52], v[11:12], v[47:48], v[53:54]
	v_fma_f64 v[47:48], -v[11:12], v[49:50], v[34:35]
	v_fma_f64 v[49:50], v[15:16], v[49:50], v[51:52]
	ds_write_b8 v33, v46
	ds_write_b128 v36, v[47:50]
	s_or_b64 exec, exec, s[4:5]
	s_mov_b64 s[4:5], -1
	s_and_saveexec_b64 s[20:21], vcc
	s_cbranch_execz .LBB23_25
.LBB23_31:                              ;   in Loop: Header=BB23_26 Depth=2
	v_add_co_u32_e32 v21, vcc, 64, v21
	v_addc_co_u32_e32 v22, vcc, 0, v22, vcc
	v_add_co_u32_e32 v29, vcc, 0x200, v29
	v_addc_co_u32_e32 v30, vcc, 0, v30, vcc
	v_cmp_ge_i64_e64 s[4:5], v[21:22], v[7:8]
	v_add_co_u32_e32 v31, vcc, 0x400, v31
	v_addc_co_u32_e32 v32, vcc, 0, v32, vcc
	s_orn2_b64 s[4:5], s[4:5], exec
	s_branch .LBB23_25
.LBB23_32:                              ;   in Loop: Header=BB23_13 Depth=1
	s_or_b64 exec, exec, s[16:17]
.LBB23_33:                              ;   in Loop: Header=BB23_13 Depth=1
	s_or_b64 exec, exec, s[12:13]
	s_waitcnt lgkmcnt(0)
	ds_read_u8 v25, v45
	s_waitcnt lgkmcnt(0)
	v_and_b32_e32 v26, 1, v25
	v_cmp_eq_u32_e64 s[4:5], 1, v26
	v_cmp_ne_u16_e32 vcc, 0, v25
	s_and_saveexec_b64 s[12:13], s[4:5]
	s_cbranch_execz .LBB23_12
; %bb.34:                               ;   in Loop: Header=BB23_13 Depth=1
	v_lshlrev_b64 v[25:26], 4, v[17:18]
	v_mov_b32_e32 v29, s7
	v_add_co_u32_e64 v25, s[4:5], s6, v25
	v_and_b32_e32 v30, vcc_lo, v23
	v_addc_co_u32_e64 v26, s[4:5], v29, v26, s[4:5]
	v_and_b32_e32 v29, vcc_hi, v24
	v_bcnt_u32_b32 v30, v30, 0
	v_bcnt_u32_b32 v29, v29, v30
	v_lshlrev_b32_e32 v33, 4, v29
	ds_read2_b64 v[29:32], v4 offset1:1
	v_add_co_u32_e64 v25, s[4:5], v25, v33
	v_addc_co_u32_e64 v26, s[4:5], 0, v26, s[4:5]
	s_waitcnt lgkmcnt(0)
	global_store_dwordx4 v[25:26], v[29:32], off offset:-16
	s_branch .LBB23_12
.LBB23_35:
	s_endpgm
	.section	.rodata,"a",@progbits
	.p2align	6, 0x0
	.amdhsa_kernel _ZN9rocsparseL37csrgeam_fill_numeric_multipass_kernelILj256ELj64Ell21rocsparse_complex_numIdEEEvllNS_24const_host_device_scalarIT3_EEPKT1_PKT2_PKS4_S5_S8_SB_SD_S8_PS4_21rocsparse_index_base_SF_SF_bbb
		.amdhsa_group_segment_fixed_size 4352
		.amdhsa_private_segment_fixed_size 24
		.amdhsa_kernarg_size 128
		.amdhsa_user_sgpr_count 8
		.amdhsa_user_sgpr_private_segment_buffer 1
		.amdhsa_user_sgpr_dispatch_ptr 0
		.amdhsa_user_sgpr_queue_ptr 0
		.amdhsa_user_sgpr_kernarg_segment_ptr 1
		.amdhsa_user_sgpr_dispatch_id 0
		.amdhsa_user_sgpr_flat_scratch_init 1
		.amdhsa_user_sgpr_private_segment_size 0
		.amdhsa_uses_dynamic_stack 0
		.amdhsa_system_sgpr_private_segment_wavefront_offset 1
		.amdhsa_system_sgpr_workgroup_id_x 1
		.amdhsa_system_sgpr_workgroup_id_y 0
		.amdhsa_system_sgpr_workgroup_id_z 0
		.amdhsa_system_sgpr_workgroup_info 0
		.amdhsa_system_vgpr_workitem_id 0
		.amdhsa_next_free_vgpr 55
		.amdhsa_next_free_sgpr 32
		.amdhsa_reserve_vcc 1
		.amdhsa_reserve_flat_scratch 1
		.amdhsa_float_round_mode_32 0
		.amdhsa_float_round_mode_16_64 0
		.amdhsa_float_denorm_mode_32 3
		.amdhsa_float_denorm_mode_16_64 3
		.amdhsa_dx10_clamp 1
		.amdhsa_ieee_mode 1
		.amdhsa_fp16_overflow 0
		.amdhsa_exception_fp_ieee_invalid_op 0
		.amdhsa_exception_fp_denorm_src 0
		.amdhsa_exception_fp_ieee_div_zero 0
		.amdhsa_exception_fp_ieee_overflow 0
		.amdhsa_exception_fp_ieee_underflow 0
		.amdhsa_exception_fp_ieee_inexact 0
		.amdhsa_exception_int_div_zero 0
	.end_amdhsa_kernel
	.section	.text._ZN9rocsparseL37csrgeam_fill_numeric_multipass_kernelILj256ELj64Ell21rocsparse_complex_numIdEEEvllNS_24const_host_device_scalarIT3_EEPKT1_PKT2_PKS4_S5_S8_SB_SD_S8_PS4_21rocsparse_index_base_SF_SF_bbb,"axG",@progbits,_ZN9rocsparseL37csrgeam_fill_numeric_multipass_kernelILj256ELj64Ell21rocsparse_complex_numIdEEEvllNS_24const_host_device_scalarIT3_EEPKT1_PKT2_PKS4_S5_S8_SB_SD_S8_PS4_21rocsparse_index_base_SF_SF_bbb,comdat
.Lfunc_end23:
	.size	_ZN9rocsparseL37csrgeam_fill_numeric_multipass_kernelILj256ELj64Ell21rocsparse_complex_numIdEEEvllNS_24const_host_device_scalarIT3_EEPKT1_PKT2_PKS4_S5_S8_SB_SD_S8_PS4_21rocsparse_index_base_SF_SF_bbb, .Lfunc_end23-_ZN9rocsparseL37csrgeam_fill_numeric_multipass_kernelILj256ELj64Ell21rocsparse_complex_numIdEEEvllNS_24const_host_device_scalarIT3_EEPKT1_PKT2_PKS4_S5_S8_SB_SD_S8_PS4_21rocsparse_index_base_SF_SF_bbb
                                        ; -- End function
	.set _ZN9rocsparseL37csrgeam_fill_numeric_multipass_kernelILj256ELj64Ell21rocsparse_complex_numIdEEEvllNS_24const_host_device_scalarIT3_EEPKT1_PKT2_PKS4_S5_S8_SB_SD_S8_PS4_21rocsparse_index_base_SF_SF_bbb.num_vgpr, 55
	.set _ZN9rocsparseL37csrgeam_fill_numeric_multipass_kernelILj256ELj64Ell21rocsparse_complex_numIdEEEvllNS_24const_host_device_scalarIT3_EEPKT1_PKT2_PKS4_S5_S8_SB_SD_S8_PS4_21rocsparse_index_base_SF_SF_bbb.num_agpr, 0
	.set _ZN9rocsparseL37csrgeam_fill_numeric_multipass_kernelILj256ELj64Ell21rocsparse_complex_numIdEEEvllNS_24const_host_device_scalarIT3_EEPKT1_PKT2_PKS4_S5_S8_SB_SD_S8_PS4_21rocsparse_index_base_SF_SF_bbb.numbered_sgpr, 32
	.set _ZN9rocsparseL37csrgeam_fill_numeric_multipass_kernelILj256ELj64Ell21rocsparse_complex_numIdEEEvllNS_24const_host_device_scalarIT3_EEPKT1_PKT2_PKS4_S5_S8_SB_SD_S8_PS4_21rocsparse_index_base_SF_SF_bbb.num_named_barrier, 0
	.set _ZN9rocsparseL37csrgeam_fill_numeric_multipass_kernelILj256ELj64Ell21rocsparse_complex_numIdEEEvllNS_24const_host_device_scalarIT3_EEPKT1_PKT2_PKS4_S5_S8_SB_SD_S8_PS4_21rocsparse_index_base_SF_SF_bbb.private_seg_size, 24
	.set _ZN9rocsparseL37csrgeam_fill_numeric_multipass_kernelILj256ELj64Ell21rocsparse_complex_numIdEEEvllNS_24const_host_device_scalarIT3_EEPKT1_PKT2_PKS4_S5_S8_SB_SD_S8_PS4_21rocsparse_index_base_SF_SF_bbb.uses_vcc, 1
	.set _ZN9rocsparseL37csrgeam_fill_numeric_multipass_kernelILj256ELj64Ell21rocsparse_complex_numIdEEEvllNS_24const_host_device_scalarIT3_EEPKT1_PKT2_PKS4_S5_S8_SB_SD_S8_PS4_21rocsparse_index_base_SF_SF_bbb.uses_flat_scratch, 1
	.set _ZN9rocsparseL37csrgeam_fill_numeric_multipass_kernelILj256ELj64Ell21rocsparse_complex_numIdEEEvllNS_24const_host_device_scalarIT3_EEPKT1_PKT2_PKS4_S5_S8_SB_SD_S8_PS4_21rocsparse_index_base_SF_SF_bbb.has_dyn_sized_stack, 0
	.set _ZN9rocsparseL37csrgeam_fill_numeric_multipass_kernelILj256ELj64Ell21rocsparse_complex_numIdEEEvllNS_24const_host_device_scalarIT3_EEPKT1_PKT2_PKS4_S5_S8_SB_SD_S8_PS4_21rocsparse_index_base_SF_SF_bbb.has_recursion, 0
	.set _ZN9rocsparseL37csrgeam_fill_numeric_multipass_kernelILj256ELj64Ell21rocsparse_complex_numIdEEEvllNS_24const_host_device_scalarIT3_EEPKT1_PKT2_PKS4_S5_S8_SB_SD_S8_PS4_21rocsparse_index_base_SF_SF_bbb.has_indirect_call, 0
	.section	.AMDGPU.csdata,"",@progbits
; Kernel info:
; codeLenInByte = 1988
; TotalNumSgprs: 38
; NumVgprs: 55
; ScratchSize: 24
; MemoryBound: 0
; FloatMode: 240
; IeeeMode: 1
; LDSByteSize: 4352 bytes/workgroup (compile time only)
; SGPRBlocks: 4
; VGPRBlocks: 13
; NumSGPRsForWavesPerEU: 38
; NumVGPRsForWavesPerEU: 55
; Occupancy: 4
; WaveLimiterHint : 1
; COMPUTE_PGM_RSRC2:SCRATCH_EN: 1
; COMPUTE_PGM_RSRC2:USER_SGPR: 8
; COMPUTE_PGM_RSRC2:TRAP_HANDLER: 0
; COMPUTE_PGM_RSRC2:TGID_X_EN: 1
; COMPUTE_PGM_RSRC2:TGID_Y_EN: 0
; COMPUTE_PGM_RSRC2:TGID_Z_EN: 0
; COMPUTE_PGM_RSRC2:TIDIG_COMP_CNT: 0
	.section	.AMDGPU.gpr_maximums,"",@progbits
	.set amdgpu.max_num_vgpr, 0
	.set amdgpu.max_num_agpr, 0
	.set amdgpu.max_num_sgpr, 0
	.section	.AMDGPU.csdata,"",@progbits
	.type	__hip_cuid_bf2d9ae01919629c,@object ; @__hip_cuid_bf2d9ae01919629c
	.section	.bss,"aw",@nobits
	.globl	__hip_cuid_bf2d9ae01919629c
__hip_cuid_bf2d9ae01919629c:
	.byte	0                               ; 0x0
	.size	__hip_cuid_bf2d9ae01919629c, 1

	.ident	"AMD clang version 22.0.0git (https://github.com/RadeonOpenCompute/llvm-project roc-7.2.4 26084 f58b06dce1f9c15707c5f808fd002e18c2accf7e)"
	.section	".note.GNU-stack","",@progbits
	.addrsig
	.addrsig_sym __hip_cuid_bf2d9ae01919629c
	.amdgpu_metadata
---
amdhsa.kernels:
  - .args:
      - .offset:         0
        .size:           8
        .value_kind:     by_value
      - .offset:         8
        .size:           8
        .value_kind:     by_value
      - .offset:         16
        .size:           8
        .value_kind:     by_value
      - .actual_access:  read_only
        .address_space:  global
        .offset:         24
        .size:           8
        .value_kind:     global_buffer
      - .actual_access:  read_only
        .address_space:  global
        .offset:         32
        .size:           8
        .value_kind:     global_buffer
      - .actual_access:  read_only
        .address_space:  global
        .offset:         40
        .size:           8
        .value_kind:     global_buffer
      - .offset:         48
        .size:           8
        .value_kind:     by_value
      - .actual_access:  read_only
        .address_space:  global
        .offset:         56
        .size:           8
        .value_kind:     global_buffer
      - .actual_access:  read_only
        .address_space:  global
        .offset:         64
        .size:           8
        .value_kind:     global_buffer
      - .actual_access:  read_only
        .address_space:  global
        .offset:         72
        .size:           8
        .value_kind:     global_buffer
      - .actual_access:  read_only
        .address_space:  global
        .offset:         80
        .size:           8
        .value_kind:     global_buffer
      - .actual_access:  write_only
        .address_space:  global
        .offset:         88
        .size:           8
        .value_kind:     global_buffer
      - .offset:         96
        .size:           4
        .value_kind:     by_value
      - .offset:         100
        .size:           4
        .value_kind:     by_value
      - .offset:         104
        .size:           4
        .value_kind:     by_value
      - .offset:         108
        .size:           1
        .value_kind:     by_value
      - .offset:         109
        .size:           1
        .value_kind:     by_value
      - .offset:         110
        .size:           1
        .value_kind:     by_value
    .group_segment_fixed_size: 1280
    .kernarg_segment_align: 8
    .kernarg_segment_size: 112
    .language:       OpenCL C
    .language_version:
      - 2
      - 0
    .max_flat_workgroup_size: 256
    .name:           _ZN9rocsparseL37csrgeam_fill_numeric_multipass_kernelILj256ELj32EiifEEvllNS_24const_host_device_scalarIT3_EEPKT1_PKT2_PKS2_S3_S6_S9_SB_S6_PS2_21rocsparse_index_base_SD_SD_bbb
    .private_segment_fixed_size: 0
    .sgpr_count:     28
    .sgpr_spill_count: 0
    .symbol:         _ZN9rocsparseL37csrgeam_fill_numeric_multipass_kernelILj256ELj32EiifEEvllNS_24const_host_device_scalarIT3_EEPKT1_PKT2_PKS2_S3_S6_S9_SB_S6_PS2_21rocsparse_index_base_SD_SD_bbb.kd
    .uniform_work_group_size: 1
    .uses_dynamic_stack: false
    .vgpr_count:     29
    .vgpr_spill_count: 0
    .wavefront_size: 64
  - .args:
      - .offset:         0
        .size:           8
        .value_kind:     by_value
      - .offset:         8
        .size:           8
        .value_kind:     by_value
      - .offset:         16
        .size:           8
        .value_kind:     by_value
      - .actual_access:  read_only
        .address_space:  global
        .offset:         24
        .size:           8
        .value_kind:     global_buffer
      - .actual_access:  read_only
        .address_space:  global
        .offset:         32
        .size:           8
        .value_kind:     global_buffer
      - .actual_access:  read_only
        .address_space:  global
        .offset:         40
        .size:           8
        .value_kind:     global_buffer
      - .offset:         48
        .size:           8
        .value_kind:     by_value
      - .actual_access:  read_only
        .address_space:  global
        .offset:         56
        .size:           8
        .value_kind:     global_buffer
      - .actual_access:  read_only
        .address_space:  global
        .offset:         64
        .size:           8
        .value_kind:     global_buffer
      - .actual_access:  read_only
        .address_space:  global
        .offset:         72
        .size:           8
        .value_kind:     global_buffer
      - .actual_access:  read_only
        .address_space:  global
        .offset:         80
        .size:           8
        .value_kind:     global_buffer
      - .actual_access:  write_only
        .address_space:  global
        .offset:         88
        .size:           8
        .value_kind:     global_buffer
      - .offset:         96
        .size:           4
        .value_kind:     by_value
      - .offset:         100
        .size:           4
        .value_kind:     by_value
      - .offset:         104
        .size:           4
        .value_kind:     by_value
      - .offset:         108
        .size:           1
        .value_kind:     by_value
      - .offset:         109
        .size:           1
        .value_kind:     by_value
      - .offset:         110
        .size:           1
        .value_kind:     by_value
    .group_segment_fixed_size: 1280
    .kernarg_segment_align: 8
    .kernarg_segment_size: 112
    .language:       OpenCL C
    .language_version:
      - 2
      - 0
    .max_flat_workgroup_size: 256
    .name:           _ZN9rocsparseL37csrgeam_fill_numeric_multipass_kernelILj256ELj64EiifEEvllNS_24const_host_device_scalarIT3_EEPKT1_PKT2_PKS2_S3_S6_S9_SB_S6_PS2_21rocsparse_index_base_SD_SD_bbb
    .private_segment_fixed_size: 0
    .sgpr_count:     28
    .sgpr_spill_count: 0
    .symbol:         _ZN9rocsparseL37csrgeam_fill_numeric_multipass_kernelILj256ELj64EiifEEvllNS_24const_host_device_scalarIT3_EEPKT1_PKT2_PKS2_S3_S6_S9_SB_S6_PS2_21rocsparse_index_base_SD_SD_bbb.kd
    .uniform_work_group_size: 1
    .uses_dynamic_stack: false
    .vgpr_count:     31
    .vgpr_spill_count: 0
    .wavefront_size: 64
  - .args:
      - .offset:         0
        .size:           8
        .value_kind:     by_value
      - .offset:         8
        .size:           8
        .value_kind:     by_value
      - .offset:         16
        .size:           8
        .value_kind:     by_value
      - .actual_access:  read_only
        .address_space:  global
        .offset:         24
        .size:           8
        .value_kind:     global_buffer
      - .actual_access:  read_only
        .address_space:  global
        .offset:         32
        .size:           8
        .value_kind:     global_buffer
      - .actual_access:  read_only
        .address_space:  global
        .offset:         40
        .size:           8
        .value_kind:     global_buffer
      - .offset:         48
        .size:           8
        .value_kind:     by_value
      - .actual_access:  read_only
        .address_space:  global
        .offset:         56
        .size:           8
        .value_kind:     global_buffer
      - .actual_access:  read_only
        .address_space:  global
        .offset:         64
        .size:           8
        .value_kind:     global_buffer
      - .actual_access:  read_only
        .address_space:  global
        .offset:         72
        .size:           8
        .value_kind:     global_buffer
      - .actual_access:  read_only
        .address_space:  global
        .offset:         80
        .size:           8
        .value_kind:     global_buffer
      - .actual_access:  write_only
        .address_space:  global
        .offset:         88
        .size:           8
        .value_kind:     global_buffer
      - .offset:         96
        .size:           4
        .value_kind:     by_value
      - .offset:         100
        .size:           4
        .value_kind:     by_value
      - .offset:         104
        .size:           4
        .value_kind:     by_value
      - .offset:         108
        .size:           1
        .value_kind:     by_value
      - .offset:         109
        .size:           1
        .value_kind:     by_value
      - .offset:         110
        .size:           1
        .value_kind:     by_value
    .group_segment_fixed_size: 1280
    .kernarg_segment_align: 8
    .kernarg_segment_size: 112
    .language:       OpenCL C
    .language_version:
      - 2
      - 0
    .max_flat_workgroup_size: 256
    .name:           _ZN9rocsparseL37csrgeam_fill_numeric_multipass_kernelILj256ELj32ElifEEvllNS_24const_host_device_scalarIT3_EEPKT1_PKT2_PKS2_S3_S6_S9_SB_S6_PS2_21rocsparse_index_base_SD_SD_bbb
    .private_segment_fixed_size: 0
    .sgpr_count:     28
    .sgpr_spill_count: 0
    .symbol:         _ZN9rocsparseL37csrgeam_fill_numeric_multipass_kernelILj256ELj32ElifEEvllNS_24const_host_device_scalarIT3_EEPKT1_PKT2_PKS2_S3_S6_S9_SB_S6_PS2_21rocsparse_index_base_SD_SD_bbb.kd
    .uniform_work_group_size: 1
    .uses_dynamic_stack: false
    .vgpr_count:     36
    .vgpr_spill_count: 0
    .wavefront_size: 64
  - .args:
      - .offset:         0
        .size:           8
        .value_kind:     by_value
      - .offset:         8
        .size:           8
        .value_kind:     by_value
      - .offset:         16
        .size:           8
        .value_kind:     by_value
      - .actual_access:  read_only
        .address_space:  global
        .offset:         24
        .size:           8
        .value_kind:     global_buffer
      - .actual_access:  read_only
        .address_space:  global
        .offset:         32
        .size:           8
        .value_kind:     global_buffer
      - .actual_access:  read_only
        .address_space:  global
        .offset:         40
        .size:           8
        .value_kind:     global_buffer
      - .offset:         48
        .size:           8
        .value_kind:     by_value
      - .actual_access:  read_only
        .address_space:  global
        .offset:         56
        .size:           8
        .value_kind:     global_buffer
      - .actual_access:  read_only
        .address_space:  global
        .offset:         64
        .size:           8
        .value_kind:     global_buffer
      - .actual_access:  read_only
        .address_space:  global
        .offset:         72
        .size:           8
        .value_kind:     global_buffer
      - .actual_access:  read_only
        .address_space:  global
        .offset:         80
        .size:           8
        .value_kind:     global_buffer
      - .actual_access:  write_only
        .address_space:  global
        .offset:         88
        .size:           8
        .value_kind:     global_buffer
      - .offset:         96
        .size:           4
        .value_kind:     by_value
      - .offset:         100
        .size:           4
        .value_kind:     by_value
      - .offset:         104
        .size:           4
        .value_kind:     by_value
      - .offset:         108
        .size:           1
        .value_kind:     by_value
      - .offset:         109
        .size:           1
        .value_kind:     by_value
      - .offset:         110
        .size:           1
        .value_kind:     by_value
    .group_segment_fixed_size: 1280
    .kernarg_segment_align: 8
    .kernarg_segment_size: 112
    .language:       OpenCL C
    .language_version:
      - 2
      - 0
    .max_flat_workgroup_size: 256
    .name:           _ZN9rocsparseL37csrgeam_fill_numeric_multipass_kernelILj256ELj64ElifEEvllNS_24const_host_device_scalarIT3_EEPKT1_PKT2_PKS2_S3_S6_S9_SB_S6_PS2_21rocsparse_index_base_SD_SD_bbb
    .private_segment_fixed_size: 0
    .sgpr_count:     28
    .sgpr_spill_count: 0
    .symbol:         _ZN9rocsparseL37csrgeam_fill_numeric_multipass_kernelILj256ELj64ElifEEvllNS_24const_host_device_scalarIT3_EEPKT1_PKT2_PKS2_S3_S6_S9_SB_S6_PS2_21rocsparse_index_base_SD_SD_bbb.kd
    .uniform_work_group_size: 1
    .uses_dynamic_stack: false
    .vgpr_count:     38
    .vgpr_spill_count: 0
    .wavefront_size: 64
  - .args:
      - .offset:         0
        .size:           8
        .value_kind:     by_value
      - .offset:         8
        .size:           8
        .value_kind:     by_value
      - .offset:         16
        .size:           8
        .value_kind:     by_value
      - .actual_access:  read_only
        .address_space:  global
        .offset:         24
        .size:           8
        .value_kind:     global_buffer
      - .actual_access:  read_only
        .address_space:  global
        .offset:         32
        .size:           8
        .value_kind:     global_buffer
      - .actual_access:  read_only
        .address_space:  global
        .offset:         40
        .size:           8
        .value_kind:     global_buffer
      - .offset:         48
        .size:           8
        .value_kind:     by_value
      - .actual_access:  read_only
        .address_space:  global
        .offset:         56
        .size:           8
        .value_kind:     global_buffer
      - .actual_access:  read_only
        .address_space:  global
        .offset:         64
        .size:           8
        .value_kind:     global_buffer
      - .actual_access:  read_only
        .address_space:  global
        .offset:         72
        .size:           8
        .value_kind:     global_buffer
      - .actual_access:  read_only
        .address_space:  global
        .offset:         80
        .size:           8
        .value_kind:     global_buffer
      - .actual_access:  write_only
        .address_space:  global
        .offset:         88
        .size:           8
        .value_kind:     global_buffer
      - .offset:         96
        .size:           4
        .value_kind:     by_value
      - .offset:         100
        .size:           4
        .value_kind:     by_value
      - .offset:         104
        .size:           4
        .value_kind:     by_value
      - .offset:         108
        .size:           1
        .value_kind:     by_value
      - .offset:         109
        .size:           1
        .value_kind:     by_value
      - .offset:         110
        .size:           1
        .value_kind:     by_value
    .group_segment_fixed_size: 1280
    .kernarg_segment_align: 8
    .kernarg_segment_size: 112
    .language:       OpenCL C
    .language_version:
      - 2
      - 0
    .max_flat_workgroup_size: 256
    .name:           _ZN9rocsparseL37csrgeam_fill_numeric_multipass_kernelILj256ELj32EllfEEvllNS_24const_host_device_scalarIT3_EEPKT1_PKT2_PKS2_S3_S6_S9_SB_S6_PS2_21rocsparse_index_base_SD_SD_bbb
    .private_segment_fixed_size: 0
    .sgpr_count:     29
    .sgpr_spill_count: 0
    .symbol:         _ZN9rocsparseL37csrgeam_fill_numeric_multipass_kernelILj256ELj32EllfEEvllNS_24const_host_device_scalarIT3_EEPKT1_PKT2_PKS2_S3_S6_S9_SB_S6_PS2_21rocsparse_index_base_SD_SD_bbb.kd
    .uniform_work_group_size: 1
    .uses_dynamic_stack: false
    .vgpr_count:     37
    .vgpr_spill_count: 0
    .wavefront_size: 64
  - .args:
      - .offset:         0
        .size:           8
        .value_kind:     by_value
      - .offset:         8
        .size:           8
        .value_kind:     by_value
      - .offset:         16
        .size:           8
        .value_kind:     by_value
      - .actual_access:  read_only
        .address_space:  global
        .offset:         24
        .size:           8
        .value_kind:     global_buffer
      - .actual_access:  read_only
        .address_space:  global
        .offset:         32
        .size:           8
        .value_kind:     global_buffer
      - .actual_access:  read_only
        .address_space:  global
        .offset:         40
        .size:           8
        .value_kind:     global_buffer
      - .offset:         48
        .size:           8
        .value_kind:     by_value
      - .actual_access:  read_only
        .address_space:  global
        .offset:         56
        .size:           8
        .value_kind:     global_buffer
      - .actual_access:  read_only
        .address_space:  global
        .offset:         64
        .size:           8
        .value_kind:     global_buffer
      - .actual_access:  read_only
        .address_space:  global
        .offset:         72
        .size:           8
        .value_kind:     global_buffer
      - .actual_access:  read_only
        .address_space:  global
        .offset:         80
        .size:           8
        .value_kind:     global_buffer
      - .actual_access:  write_only
        .address_space:  global
        .offset:         88
        .size:           8
        .value_kind:     global_buffer
      - .offset:         96
        .size:           4
        .value_kind:     by_value
      - .offset:         100
        .size:           4
        .value_kind:     by_value
      - .offset:         104
        .size:           4
        .value_kind:     by_value
      - .offset:         108
        .size:           1
        .value_kind:     by_value
      - .offset:         109
        .size:           1
        .value_kind:     by_value
      - .offset:         110
        .size:           1
        .value_kind:     by_value
    .group_segment_fixed_size: 1280
    .kernarg_segment_align: 8
    .kernarg_segment_size: 112
    .language:       OpenCL C
    .language_version:
      - 2
      - 0
    .max_flat_workgroup_size: 256
    .name:           _ZN9rocsparseL37csrgeam_fill_numeric_multipass_kernelILj256ELj64EllfEEvllNS_24const_host_device_scalarIT3_EEPKT1_PKT2_PKS2_S3_S6_S9_SB_S6_PS2_21rocsparse_index_base_SD_SD_bbb
    .private_segment_fixed_size: 0
    .sgpr_count:     29
    .sgpr_spill_count: 0
    .symbol:         _ZN9rocsparseL37csrgeam_fill_numeric_multipass_kernelILj256ELj64EllfEEvllNS_24const_host_device_scalarIT3_EEPKT1_PKT2_PKS2_S3_S6_S9_SB_S6_PS2_21rocsparse_index_base_SD_SD_bbb.kd
    .uniform_work_group_size: 1
    .uses_dynamic_stack: false
    .vgpr_count:     39
    .vgpr_spill_count: 0
    .wavefront_size: 64
  - .args:
      - .offset:         0
        .size:           8
        .value_kind:     by_value
      - .offset:         8
        .size:           8
        .value_kind:     by_value
      - .offset:         16
        .size:           8
        .value_kind:     by_value
      - .actual_access:  read_only
        .address_space:  global
        .offset:         24
        .size:           8
        .value_kind:     global_buffer
      - .actual_access:  read_only
        .address_space:  global
        .offset:         32
        .size:           8
        .value_kind:     global_buffer
      - .actual_access:  read_only
        .address_space:  global
        .offset:         40
        .size:           8
        .value_kind:     global_buffer
      - .offset:         48
        .size:           8
        .value_kind:     by_value
      - .actual_access:  read_only
        .address_space:  global
        .offset:         56
        .size:           8
        .value_kind:     global_buffer
      - .actual_access:  read_only
        .address_space:  global
        .offset:         64
        .size:           8
        .value_kind:     global_buffer
      - .actual_access:  read_only
        .address_space:  global
        .offset:         72
        .size:           8
        .value_kind:     global_buffer
      - .actual_access:  read_only
        .address_space:  global
        .offset:         80
        .size:           8
        .value_kind:     global_buffer
      - .actual_access:  write_only
        .address_space:  global
        .offset:         88
        .size:           8
        .value_kind:     global_buffer
      - .offset:         96
        .size:           4
        .value_kind:     by_value
      - .offset:         100
        .size:           4
        .value_kind:     by_value
      - .offset:         104
        .size:           4
        .value_kind:     by_value
      - .offset:         108
        .size:           1
        .value_kind:     by_value
      - .offset:         109
        .size:           1
        .value_kind:     by_value
      - .offset:         110
        .size:           1
        .value_kind:     by_value
    .group_segment_fixed_size: 2304
    .kernarg_segment_align: 8
    .kernarg_segment_size: 112
    .language:       OpenCL C
    .language_version:
      - 2
      - 0
    .max_flat_workgroup_size: 256
    .name:           _ZN9rocsparseL37csrgeam_fill_numeric_multipass_kernelILj256ELj32EiidEEvllNS_24const_host_device_scalarIT3_EEPKT1_PKT2_PKS2_S3_S6_S9_SB_S6_PS2_21rocsparse_index_base_SD_SD_bbb
    .private_segment_fixed_size: 0
    .sgpr_count:     28
    .sgpr_spill_count: 0
    .symbol:         _ZN9rocsparseL37csrgeam_fill_numeric_multipass_kernelILj256ELj32EiidEEvllNS_24const_host_device_scalarIT3_EEPKT1_PKT2_PKS2_S3_S6_S9_SB_S6_PS2_21rocsparse_index_base_SD_SD_bbb.kd
    .uniform_work_group_size: 1
    .uses_dynamic_stack: false
    .vgpr_count:     32
    .vgpr_spill_count: 0
    .wavefront_size: 64
  - .args:
      - .offset:         0
        .size:           8
        .value_kind:     by_value
      - .offset:         8
        .size:           8
        .value_kind:     by_value
      - .offset:         16
        .size:           8
        .value_kind:     by_value
      - .actual_access:  read_only
        .address_space:  global
        .offset:         24
        .size:           8
        .value_kind:     global_buffer
      - .actual_access:  read_only
        .address_space:  global
        .offset:         32
        .size:           8
        .value_kind:     global_buffer
      - .actual_access:  read_only
        .address_space:  global
        .offset:         40
        .size:           8
        .value_kind:     global_buffer
      - .offset:         48
        .size:           8
        .value_kind:     by_value
      - .actual_access:  read_only
        .address_space:  global
        .offset:         56
        .size:           8
        .value_kind:     global_buffer
      - .actual_access:  read_only
        .address_space:  global
        .offset:         64
        .size:           8
        .value_kind:     global_buffer
      - .actual_access:  read_only
        .address_space:  global
        .offset:         72
        .size:           8
        .value_kind:     global_buffer
      - .actual_access:  read_only
        .address_space:  global
        .offset:         80
        .size:           8
        .value_kind:     global_buffer
      - .actual_access:  write_only
        .address_space:  global
        .offset:         88
        .size:           8
        .value_kind:     global_buffer
      - .offset:         96
        .size:           4
        .value_kind:     by_value
      - .offset:         100
        .size:           4
        .value_kind:     by_value
      - .offset:         104
        .size:           4
        .value_kind:     by_value
      - .offset:         108
        .size:           1
        .value_kind:     by_value
      - .offset:         109
        .size:           1
        .value_kind:     by_value
      - .offset:         110
        .size:           1
        .value_kind:     by_value
    .group_segment_fixed_size: 2304
    .kernarg_segment_align: 8
    .kernarg_segment_size: 112
    .language:       OpenCL C
    .language_version:
      - 2
      - 0
    .max_flat_workgroup_size: 256
    .name:           _ZN9rocsparseL37csrgeam_fill_numeric_multipass_kernelILj256ELj64EiidEEvllNS_24const_host_device_scalarIT3_EEPKT1_PKT2_PKS2_S3_S6_S9_SB_S6_PS2_21rocsparse_index_base_SD_SD_bbb
    .private_segment_fixed_size: 0
    .sgpr_count:     28
    .sgpr_spill_count: 0
    .symbol:         _ZN9rocsparseL37csrgeam_fill_numeric_multipass_kernelILj256ELj64EiidEEvllNS_24const_host_device_scalarIT3_EEPKT1_PKT2_PKS2_S3_S6_S9_SB_S6_PS2_21rocsparse_index_base_SD_SD_bbb.kd
    .uniform_work_group_size: 1
    .uses_dynamic_stack: false
    .vgpr_count:     33
    .vgpr_spill_count: 0
    .wavefront_size: 64
  - .args:
      - .offset:         0
        .size:           8
        .value_kind:     by_value
      - .offset:         8
        .size:           8
        .value_kind:     by_value
      - .offset:         16
        .size:           8
        .value_kind:     by_value
      - .actual_access:  read_only
        .address_space:  global
        .offset:         24
        .size:           8
        .value_kind:     global_buffer
      - .actual_access:  read_only
        .address_space:  global
        .offset:         32
        .size:           8
        .value_kind:     global_buffer
      - .actual_access:  read_only
        .address_space:  global
        .offset:         40
        .size:           8
        .value_kind:     global_buffer
      - .offset:         48
        .size:           8
        .value_kind:     by_value
      - .actual_access:  read_only
        .address_space:  global
        .offset:         56
        .size:           8
        .value_kind:     global_buffer
      - .actual_access:  read_only
        .address_space:  global
        .offset:         64
        .size:           8
        .value_kind:     global_buffer
      - .actual_access:  read_only
        .address_space:  global
        .offset:         72
        .size:           8
        .value_kind:     global_buffer
      - .actual_access:  read_only
        .address_space:  global
        .offset:         80
        .size:           8
        .value_kind:     global_buffer
      - .actual_access:  write_only
        .address_space:  global
        .offset:         88
        .size:           8
        .value_kind:     global_buffer
      - .offset:         96
        .size:           4
        .value_kind:     by_value
      - .offset:         100
        .size:           4
        .value_kind:     by_value
      - .offset:         104
        .size:           4
        .value_kind:     by_value
      - .offset:         108
        .size:           1
        .value_kind:     by_value
      - .offset:         109
        .size:           1
        .value_kind:     by_value
      - .offset:         110
        .size:           1
        .value_kind:     by_value
    .group_segment_fixed_size: 2304
    .kernarg_segment_align: 8
    .kernarg_segment_size: 112
    .language:       OpenCL C
    .language_version:
      - 2
      - 0
    .max_flat_workgroup_size: 256
    .name:           _ZN9rocsparseL37csrgeam_fill_numeric_multipass_kernelILj256ELj32ElidEEvllNS_24const_host_device_scalarIT3_EEPKT1_PKT2_PKS2_S3_S6_S9_SB_S6_PS2_21rocsparse_index_base_SD_SD_bbb
    .private_segment_fixed_size: 0
    .sgpr_count:     28
    .sgpr_spill_count: 0
    .symbol:         _ZN9rocsparseL37csrgeam_fill_numeric_multipass_kernelILj256ELj32ElidEEvllNS_24const_host_device_scalarIT3_EEPKT1_PKT2_PKS2_S3_S6_S9_SB_S6_PS2_21rocsparse_index_base_SD_SD_bbb.kd
    .uniform_work_group_size: 1
    .uses_dynamic_stack: false
    .vgpr_count:     40
    .vgpr_spill_count: 0
    .wavefront_size: 64
  - .args:
      - .offset:         0
        .size:           8
        .value_kind:     by_value
      - .offset:         8
        .size:           8
        .value_kind:     by_value
      - .offset:         16
        .size:           8
        .value_kind:     by_value
      - .actual_access:  read_only
        .address_space:  global
        .offset:         24
        .size:           8
        .value_kind:     global_buffer
      - .actual_access:  read_only
        .address_space:  global
        .offset:         32
        .size:           8
        .value_kind:     global_buffer
      - .actual_access:  read_only
        .address_space:  global
        .offset:         40
        .size:           8
        .value_kind:     global_buffer
      - .offset:         48
        .size:           8
        .value_kind:     by_value
      - .actual_access:  read_only
        .address_space:  global
        .offset:         56
        .size:           8
        .value_kind:     global_buffer
      - .actual_access:  read_only
        .address_space:  global
        .offset:         64
        .size:           8
        .value_kind:     global_buffer
      - .actual_access:  read_only
        .address_space:  global
        .offset:         72
        .size:           8
        .value_kind:     global_buffer
      - .actual_access:  read_only
        .address_space:  global
        .offset:         80
        .size:           8
        .value_kind:     global_buffer
      - .actual_access:  write_only
        .address_space:  global
        .offset:         88
        .size:           8
        .value_kind:     global_buffer
      - .offset:         96
        .size:           4
        .value_kind:     by_value
      - .offset:         100
        .size:           4
        .value_kind:     by_value
      - .offset:         104
        .size:           4
        .value_kind:     by_value
      - .offset:         108
        .size:           1
        .value_kind:     by_value
      - .offset:         109
        .size:           1
        .value_kind:     by_value
      - .offset:         110
        .size:           1
        .value_kind:     by_value
    .group_segment_fixed_size: 2304
    .kernarg_segment_align: 8
    .kernarg_segment_size: 112
    .language:       OpenCL C
    .language_version:
      - 2
      - 0
    .max_flat_workgroup_size: 256
    .name:           _ZN9rocsparseL37csrgeam_fill_numeric_multipass_kernelILj256ELj64ElidEEvllNS_24const_host_device_scalarIT3_EEPKT1_PKT2_PKS2_S3_S6_S9_SB_S6_PS2_21rocsparse_index_base_SD_SD_bbb
    .private_segment_fixed_size: 0
    .sgpr_count:     28
    .sgpr_spill_count: 0
    .symbol:         _ZN9rocsparseL37csrgeam_fill_numeric_multipass_kernelILj256ELj64ElidEEvllNS_24const_host_device_scalarIT3_EEPKT1_PKT2_PKS2_S3_S6_S9_SB_S6_PS2_21rocsparse_index_base_SD_SD_bbb.kd
    .uniform_work_group_size: 1
    .uses_dynamic_stack: false
    .vgpr_count:     42
    .vgpr_spill_count: 0
    .wavefront_size: 64
  - .args:
      - .offset:         0
        .size:           8
        .value_kind:     by_value
      - .offset:         8
        .size:           8
        .value_kind:     by_value
      - .offset:         16
        .size:           8
        .value_kind:     by_value
      - .actual_access:  read_only
        .address_space:  global
        .offset:         24
        .size:           8
        .value_kind:     global_buffer
      - .actual_access:  read_only
        .address_space:  global
        .offset:         32
        .size:           8
        .value_kind:     global_buffer
      - .actual_access:  read_only
        .address_space:  global
        .offset:         40
        .size:           8
        .value_kind:     global_buffer
      - .offset:         48
        .size:           8
        .value_kind:     by_value
      - .actual_access:  read_only
        .address_space:  global
        .offset:         56
        .size:           8
        .value_kind:     global_buffer
      - .actual_access:  read_only
        .address_space:  global
        .offset:         64
        .size:           8
        .value_kind:     global_buffer
      - .actual_access:  read_only
        .address_space:  global
        .offset:         72
        .size:           8
        .value_kind:     global_buffer
      - .actual_access:  read_only
        .address_space:  global
        .offset:         80
        .size:           8
        .value_kind:     global_buffer
      - .actual_access:  write_only
        .address_space:  global
        .offset:         88
        .size:           8
        .value_kind:     global_buffer
      - .offset:         96
        .size:           4
        .value_kind:     by_value
      - .offset:         100
        .size:           4
        .value_kind:     by_value
      - .offset:         104
        .size:           4
        .value_kind:     by_value
      - .offset:         108
        .size:           1
        .value_kind:     by_value
      - .offset:         109
        .size:           1
        .value_kind:     by_value
      - .offset:         110
        .size:           1
        .value_kind:     by_value
    .group_segment_fixed_size: 2304
    .kernarg_segment_align: 8
    .kernarg_segment_size: 112
    .language:       OpenCL C
    .language_version:
      - 2
      - 0
    .max_flat_workgroup_size: 256
    .name:           _ZN9rocsparseL37csrgeam_fill_numeric_multipass_kernelILj256ELj32ElldEEvllNS_24const_host_device_scalarIT3_EEPKT1_PKT2_PKS2_S3_S6_S9_SB_S6_PS2_21rocsparse_index_base_SD_SD_bbb
    .private_segment_fixed_size: 0
    .sgpr_count:     29
    .sgpr_spill_count: 0
    .symbol:         _ZN9rocsparseL37csrgeam_fill_numeric_multipass_kernelILj256ELj32ElldEEvllNS_24const_host_device_scalarIT3_EEPKT1_PKT2_PKS2_S3_S6_S9_SB_S6_PS2_21rocsparse_index_base_SD_SD_bbb.kd
    .uniform_work_group_size: 1
    .uses_dynamic_stack: false
    .vgpr_count:     42
    .vgpr_spill_count: 0
    .wavefront_size: 64
  - .args:
      - .offset:         0
        .size:           8
        .value_kind:     by_value
      - .offset:         8
        .size:           8
        .value_kind:     by_value
      - .offset:         16
        .size:           8
        .value_kind:     by_value
      - .actual_access:  read_only
        .address_space:  global
        .offset:         24
        .size:           8
        .value_kind:     global_buffer
      - .actual_access:  read_only
        .address_space:  global
        .offset:         32
        .size:           8
        .value_kind:     global_buffer
      - .actual_access:  read_only
        .address_space:  global
        .offset:         40
        .size:           8
        .value_kind:     global_buffer
      - .offset:         48
        .size:           8
        .value_kind:     by_value
      - .actual_access:  read_only
        .address_space:  global
        .offset:         56
        .size:           8
        .value_kind:     global_buffer
      - .actual_access:  read_only
        .address_space:  global
        .offset:         64
        .size:           8
        .value_kind:     global_buffer
      - .actual_access:  read_only
        .address_space:  global
        .offset:         72
        .size:           8
        .value_kind:     global_buffer
      - .actual_access:  read_only
        .address_space:  global
        .offset:         80
        .size:           8
        .value_kind:     global_buffer
      - .actual_access:  write_only
        .address_space:  global
        .offset:         88
        .size:           8
        .value_kind:     global_buffer
      - .offset:         96
        .size:           4
        .value_kind:     by_value
      - .offset:         100
        .size:           4
        .value_kind:     by_value
      - .offset:         104
        .size:           4
        .value_kind:     by_value
      - .offset:         108
        .size:           1
        .value_kind:     by_value
      - .offset:         109
        .size:           1
        .value_kind:     by_value
      - .offset:         110
        .size:           1
        .value_kind:     by_value
    .group_segment_fixed_size: 2304
    .kernarg_segment_align: 8
    .kernarg_segment_size: 112
    .language:       OpenCL C
    .language_version:
      - 2
      - 0
    .max_flat_workgroup_size: 256
    .name:           _ZN9rocsparseL37csrgeam_fill_numeric_multipass_kernelILj256ELj64ElldEEvllNS_24const_host_device_scalarIT3_EEPKT1_PKT2_PKS2_S3_S6_S9_SB_S6_PS2_21rocsparse_index_base_SD_SD_bbb
    .private_segment_fixed_size: 0
    .sgpr_count:     29
    .sgpr_spill_count: 0
    .symbol:         _ZN9rocsparseL37csrgeam_fill_numeric_multipass_kernelILj256ELj64ElldEEvllNS_24const_host_device_scalarIT3_EEPKT1_PKT2_PKS2_S3_S6_S9_SB_S6_PS2_21rocsparse_index_base_SD_SD_bbb.kd
    .uniform_work_group_size: 1
    .uses_dynamic_stack: false
    .vgpr_count:     44
    .vgpr_spill_count: 0
    .wavefront_size: 64
  - .args:
      - .offset:         0
        .size:           8
        .value_kind:     by_value
      - .offset:         8
        .size:           8
        .value_kind:     by_value
      - .offset:         16
        .size:           8
        .value_kind:     by_value
      - .actual_access:  read_only
        .address_space:  global
        .offset:         24
        .size:           8
        .value_kind:     global_buffer
      - .actual_access:  read_only
        .address_space:  global
        .offset:         32
        .size:           8
        .value_kind:     global_buffer
      - .actual_access:  read_only
        .address_space:  global
        .offset:         40
        .size:           8
        .value_kind:     global_buffer
      - .offset:         48
        .size:           8
        .value_kind:     by_value
      - .actual_access:  read_only
        .address_space:  global
        .offset:         56
        .size:           8
        .value_kind:     global_buffer
      - .actual_access:  read_only
        .address_space:  global
        .offset:         64
        .size:           8
        .value_kind:     global_buffer
      - .actual_access:  read_only
        .address_space:  global
        .offset:         72
        .size:           8
        .value_kind:     global_buffer
      - .actual_access:  read_only
        .address_space:  global
        .offset:         80
        .size:           8
        .value_kind:     global_buffer
      - .actual_access:  write_only
        .address_space:  global
        .offset:         88
        .size:           8
        .value_kind:     global_buffer
      - .offset:         96
        .size:           4
        .value_kind:     by_value
      - .offset:         100
        .size:           4
        .value_kind:     by_value
      - .offset:         104
        .size:           4
        .value_kind:     by_value
      - .offset:         108
        .size:           1
        .value_kind:     by_value
      - .offset:         109
        .size:           1
        .value_kind:     by_value
      - .offset:         110
        .size:           1
        .value_kind:     by_value
    .group_segment_fixed_size: 2304
    .kernarg_segment_align: 8
    .kernarg_segment_size: 112
    .language:       OpenCL C
    .language_version:
      - 2
      - 0
    .max_flat_workgroup_size: 256
    .name:           _ZN9rocsparseL37csrgeam_fill_numeric_multipass_kernelILj256ELj32Eii21rocsparse_complex_numIfEEEvllNS_24const_host_device_scalarIT3_EEPKT1_PKT2_PKS4_S5_S8_SB_SD_S8_PS4_21rocsparse_index_base_SF_SF_bbb
    .private_segment_fixed_size: 0
    .sgpr_count:     44
    .sgpr_spill_count: 0
    .symbol:         _ZN9rocsparseL37csrgeam_fill_numeric_multipass_kernelILj256ELj32Eii21rocsparse_complex_numIfEEEvllNS_24const_host_device_scalarIT3_EEPKT1_PKT2_PKS4_S5_S8_SB_SD_S8_PS4_21rocsparse_index_base_SF_SF_bbb.kd
    .uniform_work_group_size: 1
    .uses_dynamic_stack: false
    .vgpr_count:     28
    .vgpr_spill_count: 0
    .wavefront_size: 64
  - .args:
      - .offset:         0
        .size:           8
        .value_kind:     by_value
      - .offset:         8
        .size:           8
        .value_kind:     by_value
      - .offset:         16
        .size:           8
        .value_kind:     by_value
      - .actual_access:  read_only
        .address_space:  global
        .offset:         24
        .size:           8
        .value_kind:     global_buffer
      - .actual_access:  read_only
        .address_space:  global
        .offset:         32
        .size:           8
        .value_kind:     global_buffer
      - .actual_access:  read_only
        .address_space:  global
        .offset:         40
        .size:           8
        .value_kind:     global_buffer
      - .offset:         48
        .size:           8
        .value_kind:     by_value
      - .actual_access:  read_only
        .address_space:  global
        .offset:         56
        .size:           8
        .value_kind:     global_buffer
      - .actual_access:  read_only
        .address_space:  global
        .offset:         64
        .size:           8
        .value_kind:     global_buffer
      - .actual_access:  read_only
        .address_space:  global
        .offset:         72
        .size:           8
        .value_kind:     global_buffer
      - .actual_access:  read_only
        .address_space:  global
        .offset:         80
        .size:           8
        .value_kind:     global_buffer
      - .actual_access:  write_only
        .address_space:  global
        .offset:         88
        .size:           8
        .value_kind:     global_buffer
      - .offset:         96
        .size:           4
        .value_kind:     by_value
      - .offset:         100
        .size:           4
        .value_kind:     by_value
      - .offset:         104
        .size:           4
        .value_kind:     by_value
      - .offset:         108
        .size:           1
        .value_kind:     by_value
      - .offset:         109
        .size:           1
        .value_kind:     by_value
      - .offset:         110
        .size:           1
        .value_kind:     by_value
    .group_segment_fixed_size: 2304
    .kernarg_segment_align: 8
    .kernarg_segment_size: 112
    .language:       OpenCL C
    .language_version:
      - 2
      - 0
    .max_flat_workgroup_size: 256
    .name:           _ZN9rocsparseL37csrgeam_fill_numeric_multipass_kernelILj256ELj64Eii21rocsparse_complex_numIfEEEvllNS_24const_host_device_scalarIT3_EEPKT1_PKT2_PKS4_S5_S8_SB_SD_S8_PS4_21rocsparse_index_base_SF_SF_bbb
    .private_segment_fixed_size: 0
    .sgpr_count:     44
    .sgpr_spill_count: 0
    .symbol:         _ZN9rocsparseL37csrgeam_fill_numeric_multipass_kernelILj256ELj64Eii21rocsparse_complex_numIfEEEvllNS_24const_host_device_scalarIT3_EEPKT1_PKT2_PKS4_S5_S8_SB_SD_S8_PS4_21rocsparse_index_base_SF_SF_bbb.kd
    .uniform_work_group_size: 1
    .uses_dynamic_stack: false
    .vgpr_count:     29
    .vgpr_spill_count: 0
    .wavefront_size: 64
  - .args:
      - .offset:         0
        .size:           8
        .value_kind:     by_value
      - .offset:         8
        .size:           8
        .value_kind:     by_value
      - .offset:         16
        .size:           8
        .value_kind:     by_value
      - .actual_access:  read_only
        .address_space:  global
        .offset:         24
        .size:           8
        .value_kind:     global_buffer
      - .actual_access:  read_only
        .address_space:  global
        .offset:         32
        .size:           8
        .value_kind:     global_buffer
      - .actual_access:  read_only
        .address_space:  global
        .offset:         40
        .size:           8
        .value_kind:     global_buffer
      - .offset:         48
        .size:           8
        .value_kind:     by_value
      - .actual_access:  read_only
        .address_space:  global
        .offset:         56
        .size:           8
        .value_kind:     global_buffer
      - .actual_access:  read_only
        .address_space:  global
        .offset:         64
        .size:           8
        .value_kind:     global_buffer
      - .actual_access:  read_only
        .address_space:  global
        .offset:         72
        .size:           8
        .value_kind:     global_buffer
      - .actual_access:  read_only
        .address_space:  global
        .offset:         80
        .size:           8
        .value_kind:     global_buffer
      - .actual_access:  write_only
        .address_space:  global
        .offset:         88
        .size:           8
        .value_kind:     global_buffer
      - .offset:         96
        .size:           4
        .value_kind:     by_value
      - .offset:         100
        .size:           4
        .value_kind:     by_value
      - .offset:         104
        .size:           4
        .value_kind:     by_value
      - .offset:         108
        .size:           1
        .value_kind:     by_value
      - .offset:         109
        .size:           1
        .value_kind:     by_value
      - .offset:         110
        .size:           1
        .value_kind:     by_value
    .group_segment_fixed_size: 2304
    .kernarg_segment_align: 8
    .kernarg_segment_size: 112
    .language:       OpenCL C
    .language_version:
      - 2
      - 0
    .max_flat_workgroup_size: 256
    .name:           _ZN9rocsparseL37csrgeam_fill_numeric_multipass_kernelILj256ELj32Eli21rocsparse_complex_numIfEEEvllNS_24const_host_device_scalarIT3_EEPKT1_PKT2_PKS4_S5_S8_SB_SD_S8_PS4_21rocsparse_index_base_SF_SF_bbb
    .private_segment_fixed_size: 0
    .sgpr_count:     44
    .sgpr_spill_count: 0
    .symbol:         _ZN9rocsparseL37csrgeam_fill_numeric_multipass_kernelILj256ELj32Eli21rocsparse_complex_numIfEEEvllNS_24const_host_device_scalarIT3_EEPKT1_PKT2_PKS4_S5_S8_SB_SD_S8_PS4_21rocsparse_index_base_SF_SF_bbb.kd
    .uniform_work_group_size: 1
    .uses_dynamic_stack: false
    .vgpr_count:     36
    .vgpr_spill_count: 0
    .wavefront_size: 64
  - .args:
      - .offset:         0
        .size:           8
        .value_kind:     by_value
      - .offset:         8
        .size:           8
        .value_kind:     by_value
      - .offset:         16
        .size:           8
        .value_kind:     by_value
      - .actual_access:  read_only
        .address_space:  global
        .offset:         24
        .size:           8
        .value_kind:     global_buffer
      - .actual_access:  read_only
        .address_space:  global
        .offset:         32
        .size:           8
        .value_kind:     global_buffer
      - .actual_access:  read_only
        .address_space:  global
        .offset:         40
        .size:           8
        .value_kind:     global_buffer
      - .offset:         48
        .size:           8
        .value_kind:     by_value
      - .actual_access:  read_only
        .address_space:  global
        .offset:         56
        .size:           8
        .value_kind:     global_buffer
      - .actual_access:  read_only
        .address_space:  global
        .offset:         64
        .size:           8
        .value_kind:     global_buffer
      - .actual_access:  read_only
        .address_space:  global
        .offset:         72
        .size:           8
        .value_kind:     global_buffer
      - .actual_access:  read_only
        .address_space:  global
        .offset:         80
        .size:           8
        .value_kind:     global_buffer
      - .actual_access:  write_only
        .address_space:  global
        .offset:         88
        .size:           8
        .value_kind:     global_buffer
      - .offset:         96
        .size:           4
        .value_kind:     by_value
      - .offset:         100
        .size:           4
        .value_kind:     by_value
      - .offset:         104
        .size:           4
        .value_kind:     by_value
      - .offset:         108
        .size:           1
        .value_kind:     by_value
      - .offset:         109
        .size:           1
        .value_kind:     by_value
      - .offset:         110
        .size:           1
        .value_kind:     by_value
    .group_segment_fixed_size: 2304
    .kernarg_segment_align: 8
    .kernarg_segment_size: 112
    .language:       OpenCL C
    .language_version:
      - 2
      - 0
    .max_flat_workgroup_size: 256
    .name:           _ZN9rocsparseL37csrgeam_fill_numeric_multipass_kernelILj256ELj64Eli21rocsparse_complex_numIfEEEvllNS_24const_host_device_scalarIT3_EEPKT1_PKT2_PKS4_S5_S8_SB_SD_S8_PS4_21rocsparse_index_base_SF_SF_bbb
    .private_segment_fixed_size: 0
    .sgpr_count:     44
    .sgpr_spill_count: 0
    .symbol:         _ZN9rocsparseL37csrgeam_fill_numeric_multipass_kernelILj256ELj64Eli21rocsparse_complex_numIfEEEvllNS_24const_host_device_scalarIT3_EEPKT1_PKT2_PKS4_S5_S8_SB_SD_S8_PS4_21rocsparse_index_base_SF_SF_bbb.kd
    .uniform_work_group_size: 1
    .uses_dynamic_stack: false
    .vgpr_count:     38
    .vgpr_spill_count: 0
    .wavefront_size: 64
  - .args:
      - .offset:         0
        .size:           8
        .value_kind:     by_value
      - .offset:         8
        .size:           8
        .value_kind:     by_value
      - .offset:         16
        .size:           8
        .value_kind:     by_value
      - .actual_access:  read_only
        .address_space:  global
        .offset:         24
        .size:           8
        .value_kind:     global_buffer
      - .actual_access:  read_only
        .address_space:  global
        .offset:         32
        .size:           8
        .value_kind:     global_buffer
      - .actual_access:  read_only
        .address_space:  global
        .offset:         40
        .size:           8
        .value_kind:     global_buffer
      - .offset:         48
        .size:           8
        .value_kind:     by_value
      - .actual_access:  read_only
        .address_space:  global
        .offset:         56
        .size:           8
        .value_kind:     global_buffer
      - .actual_access:  read_only
        .address_space:  global
        .offset:         64
        .size:           8
        .value_kind:     global_buffer
      - .actual_access:  read_only
        .address_space:  global
        .offset:         72
        .size:           8
        .value_kind:     global_buffer
      - .actual_access:  read_only
        .address_space:  global
        .offset:         80
        .size:           8
        .value_kind:     global_buffer
      - .actual_access:  write_only
        .address_space:  global
        .offset:         88
        .size:           8
        .value_kind:     global_buffer
      - .offset:         96
        .size:           4
        .value_kind:     by_value
      - .offset:         100
        .size:           4
        .value_kind:     by_value
      - .offset:         104
        .size:           4
        .value_kind:     by_value
      - .offset:         108
        .size:           1
        .value_kind:     by_value
      - .offset:         109
        .size:           1
        .value_kind:     by_value
      - .offset:         110
        .size:           1
        .value_kind:     by_value
    .group_segment_fixed_size: 2304
    .kernarg_segment_align: 8
    .kernarg_segment_size: 112
    .language:       OpenCL C
    .language_version:
      - 2
      - 0
    .max_flat_workgroup_size: 256
    .name:           _ZN9rocsparseL37csrgeam_fill_numeric_multipass_kernelILj256ELj32Ell21rocsparse_complex_numIfEEEvllNS_24const_host_device_scalarIT3_EEPKT1_PKT2_PKS4_S5_S8_SB_SD_S8_PS4_21rocsparse_index_base_SF_SF_bbb
    .private_segment_fixed_size: 0
    .sgpr_count:     44
    .sgpr_spill_count: 0
    .symbol:         _ZN9rocsparseL37csrgeam_fill_numeric_multipass_kernelILj256ELj32Ell21rocsparse_complex_numIfEEEvllNS_24const_host_device_scalarIT3_EEPKT1_PKT2_PKS4_S5_S8_SB_SD_S8_PS4_21rocsparse_index_base_SF_SF_bbb.kd
    .uniform_work_group_size: 1
    .uses_dynamic_stack: false
    .vgpr_count:     38
    .vgpr_spill_count: 0
    .wavefront_size: 64
  - .args:
      - .offset:         0
        .size:           8
        .value_kind:     by_value
      - .offset:         8
        .size:           8
        .value_kind:     by_value
      - .offset:         16
        .size:           8
        .value_kind:     by_value
      - .actual_access:  read_only
        .address_space:  global
        .offset:         24
        .size:           8
        .value_kind:     global_buffer
      - .actual_access:  read_only
        .address_space:  global
        .offset:         32
        .size:           8
        .value_kind:     global_buffer
      - .actual_access:  read_only
        .address_space:  global
        .offset:         40
        .size:           8
        .value_kind:     global_buffer
      - .offset:         48
        .size:           8
        .value_kind:     by_value
      - .actual_access:  read_only
        .address_space:  global
        .offset:         56
        .size:           8
        .value_kind:     global_buffer
      - .actual_access:  read_only
        .address_space:  global
        .offset:         64
        .size:           8
        .value_kind:     global_buffer
      - .actual_access:  read_only
        .address_space:  global
        .offset:         72
        .size:           8
        .value_kind:     global_buffer
      - .actual_access:  read_only
        .address_space:  global
        .offset:         80
        .size:           8
        .value_kind:     global_buffer
      - .actual_access:  write_only
        .address_space:  global
        .offset:         88
        .size:           8
        .value_kind:     global_buffer
      - .offset:         96
        .size:           4
        .value_kind:     by_value
      - .offset:         100
        .size:           4
        .value_kind:     by_value
      - .offset:         104
        .size:           4
        .value_kind:     by_value
      - .offset:         108
        .size:           1
        .value_kind:     by_value
      - .offset:         109
        .size:           1
        .value_kind:     by_value
      - .offset:         110
        .size:           1
        .value_kind:     by_value
    .group_segment_fixed_size: 2304
    .kernarg_segment_align: 8
    .kernarg_segment_size: 112
    .language:       OpenCL C
    .language_version:
      - 2
      - 0
    .max_flat_workgroup_size: 256
    .name:           _ZN9rocsparseL37csrgeam_fill_numeric_multipass_kernelILj256ELj64Ell21rocsparse_complex_numIfEEEvllNS_24const_host_device_scalarIT3_EEPKT1_PKT2_PKS4_S5_S8_SB_SD_S8_PS4_21rocsparse_index_base_SF_SF_bbb
    .private_segment_fixed_size: 0
    .sgpr_count:     44
    .sgpr_spill_count: 0
    .symbol:         _ZN9rocsparseL37csrgeam_fill_numeric_multipass_kernelILj256ELj64Ell21rocsparse_complex_numIfEEEvllNS_24const_host_device_scalarIT3_EEPKT1_PKT2_PKS4_S5_S8_SB_SD_S8_PS4_21rocsparse_index_base_SF_SF_bbb.kd
    .uniform_work_group_size: 1
    .uses_dynamic_stack: false
    .vgpr_count:     40
    .vgpr_spill_count: 0
    .wavefront_size: 64
  - .args:
      - .offset:         0
        .size:           8
        .value_kind:     by_value
      - .offset:         8
        .size:           8
        .value_kind:     by_value
      - .offset:         16
        .size:           16
        .value_kind:     by_value
      - .actual_access:  read_only
        .address_space:  global
        .offset:         32
        .size:           8
        .value_kind:     global_buffer
      - .actual_access:  read_only
        .address_space:  global
        .offset:         40
        .size:           8
        .value_kind:     global_buffer
      - .actual_access:  read_only
        .address_space:  global
        .offset:         48
        .size:           8
        .value_kind:     global_buffer
      - .offset:         56
        .size:           16
        .value_kind:     by_value
      - .actual_access:  read_only
        .address_space:  global
        .offset:         72
        .size:           8
        .value_kind:     global_buffer
      - .actual_access:  read_only
        .address_space:  global
        .offset:         80
        .size:           8
        .value_kind:     global_buffer
      - .actual_access:  read_only
        .address_space:  global
        .offset:         88
        .size:           8
        .value_kind:     global_buffer
      - .actual_access:  read_only
        .address_space:  global
        .offset:         96
        .size:           8
        .value_kind:     global_buffer
      - .actual_access:  write_only
        .address_space:  global
        .offset:         104
        .size:           8
        .value_kind:     global_buffer
      - .offset:         112
        .size:           4
        .value_kind:     by_value
      - .offset:         116
        .size:           4
        .value_kind:     by_value
      - .offset:         120
        .size:           4
        .value_kind:     by_value
      - .offset:         124
        .size:           1
        .value_kind:     by_value
      - .offset:         125
        .size:           1
        .value_kind:     by_value
      - .offset:         126
        .size:           1
        .value_kind:     by_value
    .group_segment_fixed_size: 4352
    .kernarg_segment_align: 8
    .kernarg_segment_size: 128
    .language:       OpenCL C
    .language_version:
      - 2
      - 0
    .max_flat_workgroup_size: 256
    .name:           _ZN9rocsparseL37csrgeam_fill_numeric_multipass_kernelILj256ELj32Eii21rocsparse_complex_numIdEEEvllNS_24const_host_device_scalarIT3_EEPKT1_PKT2_PKS4_S5_S8_SB_SD_S8_PS4_21rocsparse_index_base_SF_SF_bbb
    .private_segment_fixed_size: 24
    .sgpr_count:     38
    .sgpr_spill_count: 0
    .symbol:         _ZN9rocsparseL37csrgeam_fill_numeric_multipass_kernelILj256ELj32Eii21rocsparse_complex_numIdEEEvllNS_24const_host_device_scalarIT3_EEPKT1_PKT2_PKS4_S5_S8_SB_SD_S8_PS4_21rocsparse_index_base_SF_SF_bbb.kd
    .uniform_work_group_size: 1
    .uses_dynamic_stack: false
    .vgpr_count:     42
    .vgpr_spill_count: 0
    .wavefront_size: 64
  - .args:
      - .offset:         0
        .size:           8
        .value_kind:     by_value
      - .offset:         8
        .size:           8
        .value_kind:     by_value
      - .offset:         16
        .size:           16
        .value_kind:     by_value
      - .actual_access:  read_only
        .address_space:  global
        .offset:         32
        .size:           8
        .value_kind:     global_buffer
      - .actual_access:  read_only
        .address_space:  global
        .offset:         40
        .size:           8
        .value_kind:     global_buffer
      - .actual_access:  read_only
        .address_space:  global
        .offset:         48
        .size:           8
        .value_kind:     global_buffer
      - .offset:         56
        .size:           16
        .value_kind:     by_value
      - .actual_access:  read_only
        .address_space:  global
        .offset:         72
        .size:           8
        .value_kind:     global_buffer
      - .actual_access:  read_only
        .address_space:  global
        .offset:         80
        .size:           8
        .value_kind:     global_buffer
      - .actual_access:  read_only
        .address_space:  global
        .offset:         88
        .size:           8
        .value_kind:     global_buffer
      - .actual_access:  read_only
        .address_space:  global
        .offset:         96
        .size:           8
        .value_kind:     global_buffer
      - .actual_access:  write_only
        .address_space:  global
        .offset:         104
        .size:           8
        .value_kind:     global_buffer
      - .offset:         112
        .size:           4
        .value_kind:     by_value
      - .offset:         116
        .size:           4
        .value_kind:     by_value
      - .offset:         120
        .size:           4
        .value_kind:     by_value
      - .offset:         124
        .size:           1
        .value_kind:     by_value
      - .offset:         125
        .size:           1
        .value_kind:     by_value
      - .offset:         126
        .size:           1
        .value_kind:     by_value
    .group_segment_fixed_size: 4352
    .kernarg_segment_align: 8
    .kernarg_segment_size: 128
    .language:       OpenCL C
    .language_version:
      - 2
      - 0
    .max_flat_workgroup_size: 256
    .name:           _ZN9rocsparseL37csrgeam_fill_numeric_multipass_kernelILj256ELj64Eii21rocsparse_complex_numIdEEEvllNS_24const_host_device_scalarIT3_EEPKT1_PKT2_PKS4_S5_S8_SB_SD_S8_PS4_21rocsparse_index_base_SF_SF_bbb
    .private_segment_fixed_size: 24
    .sgpr_count:     38
    .sgpr_spill_count: 0
    .symbol:         _ZN9rocsparseL37csrgeam_fill_numeric_multipass_kernelILj256ELj64Eii21rocsparse_complex_numIdEEEvllNS_24const_host_device_scalarIT3_EEPKT1_PKT2_PKS4_S5_S8_SB_SD_S8_PS4_21rocsparse_index_base_SF_SF_bbb.kd
    .uniform_work_group_size: 1
    .uses_dynamic_stack: false
    .vgpr_count:     45
    .vgpr_spill_count: 0
    .wavefront_size: 64
  - .args:
      - .offset:         0
        .size:           8
        .value_kind:     by_value
      - .offset:         8
        .size:           8
        .value_kind:     by_value
      - .offset:         16
        .size:           16
        .value_kind:     by_value
      - .actual_access:  read_only
        .address_space:  global
        .offset:         32
        .size:           8
        .value_kind:     global_buffer
      - .actual_access:  read_only
        .address_space:  global
        .offset:         40
        .size:           8
        .value_kind:     global_buffer
      - .actual_access:  read_only
        .address_space:  global
        .offset:         48
        .size:           8
        .value_kind:     global_buffer
      - .offset:         56
        .size:           16
        .value_kind:     by_value
      - .actual_access:  read_only
        .address_space:  global
        .offset:         72
        .size:           8
        .value_kind:     global_buffer
      - .actual_access:  read_only
        .address_space:  global
        .offset:         80
        .size:           8
        .value_kind:     global_buffer
      - .actual_access:  read_only
        .address_space:  global
        .offset:         88
        .size:           8
        .value_kind:     global_buffer
      - .actual_access:  read_only
        .address_space:  global
        .offset:         96
        .size:           8
        .value_kind:     global_buffer
      - .actual_access:  write_only
        .address_space:  global
        .offset:         104
        .size:           8
        .value_kind:     global_buffer
      - .offset:         112
        .size:           4
        .value_kind:     by_value
      - .offset:         116
        .size:           4
        .value_kind:     by_value
      - .offset:         120
        .size:           4
        .value_kind:     by_value
      - .offset:         124
        .size:           1
        .value_kind:     by_value
      - .offset:         125
        .size:           1
        .value_kind:     by_value
      - .offset:         126
        .size:           1
        .value_kind:     by_value
    .group_segment_fixed_size: 4352
    .kernarg_segment_align: 8
    .kernarg_segment_size: 128
    .language:       OpenCL C
    .language_version:
      - 2
      - 0
    .max_flat_workgroup_size: 256
    .name:           _ZN9rocsparseL37csrgeam_fill_numeric_multipass_kernelILj256ELj32Eli21rocsparse_complex_numIdEEEvllNS_24const_host_device_scalarIT3_EEPKT1_PKT2_PKS4_S5_S8_SB_SD_S8_PS4_21rocsparse_index_base_SF_SF_bbb
    .private_segment_fixed_size: 24
    .sgpr_count:     38
    .sgpr_spill_count: 0
    .symbol:         _ZN9rocsparseL37csrgeam_fill_numeric_multipass_kernelILj256ELj32Eli21rocsparse_complex_numIdEEEvllNS_24const_host_device_scalarIT3_EEPKT1_PKT2_PKS4_S5_S8_SB_SD_S8_PS4_21rocsparse_index_base_SF_SF_bbb.kd
    .uniform_work_group_size: 1
    .uses_dynamic_stack: false
    .vgpr_count:     50
    .vgpr_spill_count: 0
    .wavefront_size: 64
  - .args:
      - .offset:         0
        .size:           8
        .value_kind:     by_value
      - .offset:         8
        .size:           8
        .value_kind:     by_value
      - .offset:         16
        .size:           16
        .value_kind:     by_value
      - .actual_access:  read_only
        .address_space:  global
        .offset:         32
        .size:           8
        .value_kind:     global_buffer
      - .actual_access:  read_only
        .address_space:  global
        .offset:         40
        .size:           8
        .value_kind:     global_buffer
      - .actual_access:  read_only
        .address_space:  global
        .offset:         48
        .size:           8
        .value_kind:     global_buffer
      - .offset:         56
        .size:           16
        .value_kind:     by_value
      - .actual_access:  read_only
        .address_space:  global
        .offset:         72
        .size:           8
        .value_kind:     global_buffer
      - .actual_access:  read_only
        .address_space:  global
        .offset:         80
        .size:           8
        .value_kind:     global_buffer
      - .actual_access:  read_only
        .address_space:  global
        .offset:         88
        .size:           8
        .value_kind:     global_buffer
      - .actual_access:  read_only
        .address_space:  global
        .offset:         96
        .size:           8
        .value_kind:     global_buffer
      - .actual_access:  write_only
        .address_space:  global
        .offset:         104
        .size:           8
        .value_kind:     global_buffer
      - .offset:         112
        .size:           4
        .value_kind:     by_value
      - .offset:         116
        .size:           4
        .value_kind:     by_value
      - .offset:         120
        .size:           4
        .value_kind:     by_value
      - .offset:         124
        .size:           1
        .value_kind:     by_value
      - .offset:         125
        .size:           1
        .value_kind:     by_value
      - .offset:         126
        .size:           1
        .value_kind:     by_value
    .group_segment_fixed_size: 4352
    .kernarg_segment_align: 8
    .kernarg_segment_size: 128
    .language:       OpenCL C
    .language_version:
      - 2
      - 0
    .max_flat_workgroup_size: 256
    .name:           _ZN9rocsparseL37csrgeam_fill_numeric_multipass_kernelILj256ELj64Eli21rocsparse_complex_numIdEEEvllNS_24const_host_device_scalarIT3_EEPKT1_PKT2_PKS4_S5_S8_SB_SD_S8_PS4_21rocsparse_index_base_SF_SF_bbb
    .private_segment_fixed_size: 24
    .sgpr_count:     38
    .sgpr_spill_count: 0
    .symbol:         _ZN9rocsparseL37csrgeam_fill_numeric_multipass_kernelILj256ELj64Eli21rocsparse_complex_numIdEEEvllNS_24const_host_device_scalarIT3_EEPKT1_PKT2_PKS4_S5_S8_SB_SD_S8_PS4_21rocsparse_index_base_SF_SF_bbb.kd
    .uniform_work_group_size: 1
    .uses_dynamic_stack: false
    .vgpr_count:     52
    .vgpr_spill_count: 0
    .wavefront_size: 64
  - .args:
      - .offset:         0
        .size:           8
        .value_kind:     by_value
      - .offset:         8
        .size:           8
        .value_kind:     by_value
      - .offset:         16
        .size:           16
        .value_kind:     by_value
      - .actual_access:  read_only
        .address_space:  global
        .offset:         32
        .size:           8
        .value_kind:     global_buffer
      - .actual_access:  read_only
        .address_space:  global
        .offset:         40
        .size:           8
        .value_kind:     global_buffer
      - .actual_access:  read_only
        .address_space:  global
        .offset:         48
        .size:           8
        .value_kind:     global_buffer
      - .offset:         56
        .size:           16
        .value_kind:     by_value
      - .actual_access:  read_only
        .address_space:  global
        .offset:         72
        .size:           8
        .value_kind:     global_buffer
      - .actual_access:  read_only
        .address_space:  global
        .offset:         80
        .size:           8
        .value_kind:     global_buffer
      - .actual_access:  read_only
        .address_space:  global
        .offset:         88
        .size:           8
        .value_kind:     global_buffer
      - .actual_access:  read_only
        .address_space:  global
        .offset:         96
        .size:           8
        .value_kind:     global_buffer
      - .actual_access:  write_only
        .address_space:  global
        .offset:         104
        .size:           8
        .value_kind:     global_buffer
      - .offset:         112
        .size:           4
        .value_kind:     by_value
      - .offset:         116
        .size:           4
        .value_kind:     by_value
      - .offset:         120
        .size:           4
        .value_kind:     by_value
      - .offset:         124
        .size:           1
        .value_kind:     by_value
      - .offset:         125
        .size:           1
        .value_kind:     by_value
      - .offset:         126
        .size:           1
        .value_kind:     by_value
    .group_segment_fixed_size: 4352
    .kernarg_segment_align: 8
    .kernarg_segment_size: 128
    .language:       OpenCL C
    .language_version:
      - 2
      - 0
    .max_flat_workgroup_size: 256
    .name:           _ZN9rocsparseL37csrgeam_fill_numeric_multipass_kernelILj256ELj32Ell21rocsparse_complex_numIdEEEvllNS_24const_host_device_scalarIT3_EEPKT1_PKT2_PKS4_S5_S8_SB_SD_S8_PS4_21rocsparse_index_base_SF_SF_bbb
    .private_segment_fixed_size: 24
    .sgpr_count:     38
    .sgpr_spill_count: 0
    .symbol:         _ZN9rocsparseL37csrgeam_fill_numeric_multipass_kernelILj256ELj32Ell21rocsparse_complex_numIdEEEvllNS_24const_host_device_scalarIT3_EEPKT1_PKT2_PKS4_S5_S8_SB_SD_S8_PS4_21rocsparse_index_base_SF_SF_bbb.kd
    .uniform_work_group_size: 1
    .uses_dynamic_stack: false
    .vgpr_count:     53
    .vgpr_spill_count: 0
    .wavefront_size: 64
  - .args:
      - .offset:         0
        .size:           8
        .value_kind:     by_value
      - .offset:         8
        .size:           8
        .value_kind:     by_value
      - .offset:         16
        .size:           16
        .value_kind:     by_value
      - .actual_access:  read_only
        .address_space:  global
        .offset:         32
        .size:           8
        .value_kind:     global_buffer
      - .actual_access:  read_only
        .address_space:  global
        .offset:         40
        .size:           8
        .value_kind:     global_buffer
      - .actual_access:  read_only
        .address_space:  global
        .offset:         48
        .size:           8
        .value_kind:     global_buffer
      - .offset:         56
        .size:           16
        .value_kind:     by_value
      - .actual_access:  read_only
        .address_space:  global
        .offset:         72
        .size:           8
        .value_kind:     global_buffer
      - .actual_access:  read_only
        .address_space:  global
        .offset:         80
        .size:           8
        .value_kind:     global_buffer
      - .actual_access:  read_only
        .address_space:  global
        .offset:         88
        .size:           8
        .value_kind:     global_buffer
      - .actual_access:  read_only
        .address_space:  global
        .offset:         96
        .size:           8
        .value_kind:     global_buffer
      - .actual_access:  write_only
        .address_space:  global
        .offset:         104
        .size:           8
        .value_kind:     global_buffer
      - .offset:         112
        .size:           4
        .value_kind:     by_value
      - .offset:         116
        .size:           4
        .value_kind:     by_value
      - .offset:         120
        .size:           4
        .value_kind:     by_value
      - .offset:         124
        .size:           1
        .value_kind:     by_value
      - .offset:         125
        .size:           1
        .value_kind:     by_value
      - .offset:         126
        .size:           1
        .value_kind:     by_value
    .group_segment_fixed_size: 4352
    .kernarg_segment_align: 8
    .kernarg_segment_size: 128
    .language:       OpenCL C
    .language_version:
      - 2
      - 0
    .max_flat_workgroup_size: 256
    .name:           _ZN9rocsparseL37csrgeam_fill_numeric_multipass_kernelILj256ELj64Ell21rocsparse_complex_numIdEEEvllNS_24const_host_device_scalarIT3_EEPKT1_PKT2_PKS4_S5_S8_SB_SD_S8_PS4_21rocsparse_index_base_SF_SF_bbb
    .private_segment_fixed_size: 24
    .sgpr_count:     38
    .sgpr_spill_count: 0
    .symbol:         _ZN9rocsparseL37csrgeam_fill_numeric_multipass_kernelILj256ELj64Ell21rocsparse_complex_numIdEEEvllNS_24const_host_device_scalarIT3_EEPKT1_PKT2_PKS4_S5_S8_SB_SD_S8_PS4_21rocsparse_index_base_SF_SF_bbb.kd
    .uniform_work_group_size: 1
    .uses_dynamic_stack: false
    .vgpr_count:     55
    .vgpr_spill_count: 0
    .wavefront_size: 64
amdhsa.target:   amdgcn-amd-amdhsa--gfx906
amdhsa.version:
  - 1
  - 2
...

	.end_amdgpu_metadata
